;; amdgpu-corpus repo=ROCm/rocFFT kind=compiled arch=gfx1030 opt=O3
	.text
	.amdgcn_target "amdgcn-amd-amdhsa--gfx1030"
	.amdhsa_code_object_version 6
	.protected	fft_rtc_fwd_len289_factors_17_17_wgs_119_tpt_17_half_ip_CI_sbcc_twdbase8_3step_dirReg ; -- Begin function fft_rtc_fwd_len289_factors_17_17_wgs_119_tpt_17_half_ip_CI_sbcc_twdbase8_3step_dirReg
	.globl	fft_rtc_fwd_len289_factors_17_17_wgs_119_tpt_17_half_ip_CI_sbcc_twdbase8_3step_dirReg
	.p2align	8
	.type	fft_rtc_fwd_len289_factors_17_17_wgs_119_tpt_17_half_ip_CI_sbcc_twdbase8_3step_dirReg,@function
fft_rtc_fwd_len289_factors_17_17_wgs_119_tpt_17_half_ip_CI_sbcc_twdbase8_3step_dirReg: ; @fft_rtc_fwd_len289_factors_17_17_wgs_119_tpt_17_half_ip_CI_sbcc_twdbase8_3step_dirReg
; %bb.0:
	s_load_dwordx4 s[12:15], s[4:5], 0x18
	s_mov_b64 s[22:23], 0
	s_waitcnt lgkmcnt(0)
	s_load_dwordx2 s[18:19], s[12:13], 0x8
	s_waitcnt lgkmcnt(0)
	s_add_u32 s0, s18, -1
	s_addc_u32 s1, s19, -1
	s_add_u32 s2, 0, 0x92481000
	s_addc_u32 s3, 0, 0x64
	s_mul_hi_u32 s8, s2, -7
	s_add_i32 s3, s3, 0x249248c0
	s_sub_i32 s8, s8, s2
	s_mul_i32 s10, s3, -7
	s_mul_i32 s7, s2, -7
	s_add_i32 s8, s8, s10
	s_mul_hi_u32 s9, s2, s7
	s_mul_i32 s16, s2, s8
	s_mul_hi_u32 s10, s2, s8
	s_mul_hi_u32 s11, s3, s7
	s_mul_i32 s7, s3, s7
	s_add_u32 s9, s9, s16
	s_addc_u32 s10, 0, s10
	s_mul_hi_u32 s17, s3, s8
	s_add_u32 s7, s9, s7
	s_mul_i32 s8, s3, s8
	s_addc_u32 s7, s10, s11
	s_addc_u32 s9, s17, 0
	s_add_u32 s7, s7, s8
	v_add_co_u32 v1, s2, s2, s7
	s_addc_u32 s7, 0, s9
	s_cmp_lg_u32 s2, 0
	s_addc_u32 s2, s3, s7
	v_readfirstlane_b32 s3, v1
	s_mul_i32 s8, s0, s2
	s_mul_hi_u32 s7, s0, s2
	s_mul_hi_u32 s9, s1, s2
	s_mul_i32 s2, s1, s2
	s_mul_hi_u32 s10, s0, s3
	s_mul_hi_u32 s11, s1, s3
	s_mul_i32 s3, s1, s3
	s_add_u32 s8, s10, s8
	s_addc_u32 s7, 0, s7
	s_add_u32 s3, s8, s3
	s_addc_u32 s3, s7, s11
	s_addc_u32 s7, s9, 0
	s_add_u32 s2, s3, s2
	s_addc_u32 s3, 0, s7
	s_mul_i32 s8, s2, 7
	s_add_u32 s7, s2, 1
	v_sub_co_u32 v1, s0, s0, s8
	s_mul_hi_u32 s8, s2, 7
	s_addc_u32 s9, s3, 0
	s_mul_i32 s10, s3, 7
	v_sub_co_u32 v2, s11, v1, 7
	s_add_u32 s16, s2, 2
	s_addc_u32 s17, s3, 0
	s_add_i32 s8, s8, s10
	s_cmp_lg_u32 s0, 0
	v_readfirstlane_b32 s0, v2
	s_subb_u32 s1, s1, s8
	s_cmp_lg_u32 s11, 0
	s_subb_u32 s8, s1, 0
	s_cmp_gt_u32 s0, 6
	s_cselect_b32 s0, -1, 0
	s_cmp_eq_u32 s8, 0
	v_readfirstlane_b32 s8, v1
	s_cselect_b32 s0, s0, -1
	s_cmp_lg_u32 s0, 0
	s_cselect_b32 s0, s16, s7
	s_cselect_b32 s9, s17, s9
	s_cmp_gt_u32 s8, 6
	s_cselect_b32 s7, -1, 0
	s_cmp_eq_u32 s1, 0
	s_cselect_b32 s1, s7, -1
	s_mov_b32 s7, 0
	s_cmp_lg_u32 s1, 0
	s_cselect_b32 s0, s0, s2
	s_cselect_b32 s1, s9, s3
	s_add_u32 s20, s0, 1
	s_addc_u32 s21, s1, 0
	v_cmp_lt_u64_e64 s0, s[6:7], s[20:21]
	s_and_b32 vcc_lo, exec_lo, s0
	s_cbranch_vccnz .LBB0_2
; %bb.1:
	v_cvt_f32_u32_e32 v1, s20
	s_sub_i32 s1, 0, s20
	s_mov_b32 s23, s7
	v_rcp_iflag_f32_e32 v1, v1
	v_mul_f32_e32 v1, 0x4f7ffffe, v1
	v_cvt_u32_f32_e32 v1, v1
	v_readfirstlane_b32 s0, v1
	s_mul_i32 s1, s1, s0
	s_mul_hi_u32 s1, s0, s1
	s_add_i32 s0, s0, s1
	s_mul_hi_u32 s0, s6, s0
	s_mul_i32 s1, s0, s20
	s_add_i32 s2, s0, 1
	s_sub_i32 s1, s6, s1
	s_sub_i32 s3, s1, s20
	s_cmp_ge_u32 s1, s20
	s_cselect_b32 s0, s2, s0
	s_cselect_b32 s1, s3, s1
	s_add_i32 s2, s0, 1
	s_cmp_ge_u32 s1, s20
	s_cselect_b32 s22, s2, s0
.LBB0_2:
	s_load_dwordx4 s[0:3], s[14:15], 0x0
	s_clause 0x2
	s_load_dwordx4 s[8:11], s[4:5], 0x8
	s_load_dwordx2 s[16:17], s[4:5], 0x0
	s_load_dwordx2 s[4:5], s[4:5], 0x58
	s_mul_i32 s24, s22, s21
	s_mul_hi_u32 s25, s22, s20
	s_mul_i32 s26, s22, s20
	s_add_i32 s25, s25, s24
	s_sub_u32 s36, s6, s26
	s_subb_u32 s24, 0, s25
	s_mul_hi_u32 s33, s36, 7
	s_mul_i32 s24, s24, 7
	s_mul_i32 s36, s36, 7
	s_add_i32 s33, s33, s24
	s_waitcnt lgkmcnt(0)
	s_mul_i32 s24, s2, s33
	v_cmp_lt_u64_e64 s26, s[10:11], 3
	s_mul_hi_u32 s25, s2, s36
	s_mul_i32 s38, s2, s36
	s_add_i32 s24, s25, s24
	s_mul_i32 s25, s3, s36
	s_add_i32 s37, s24, s25
	s_and_b32 vcc_lo, exec_lo, s26
	s_cbranch_vccnz .LBB0_12
; %bb.3:
	s_add_u32 s24, s14, 16
	s_addc_u32 s25, s15, 0
	s_add_u32 s12, s12, 16
	s_addc_u32 s13, s13, 0
	s_mov_b64 s[26:27], 2
	s_mov_b32 s28, 0
.LBB0_4:                                ; =>This Inner Loop Header: Depth=1
	s_load_dwordx2 s[30:31], s[12:13], 0x0
	s_waitcnt lgkmcnt(0)
	s_or_b64 s[34:35], s[22:23], s[30:31]
	s_mov_b32 s29, s35
                                        ; implicit-def: $sgpr34_sgpr35
	s_cmp_lg_u64 s[28:29], 0
	s_mov_b32 s29, -1
	s_cbranch_scc0 .LBB0_6
; %bb.5:                                ;   in Loop: Header=BB0_4 Depth=1
	v_cvt_f32_u32_e32 v1, s30
	v_cvt_f32_u32_e32 v2, s31
	s_sub_u32 s35, 0, s30
	s_subb_u32 s39, 0, s31
	v_fmac_f32_e32 v1, 0x4f800000, v2
	v_rcp_f32_e32 v1, v1
	v_mul_f32_e32 v1, 0x5f7ffffc, v1
	v_mul_f32_e32 v2, 0x2f800000, v1
	v_trunc_f32_e32 v2, v2
	v_fmac_f32_e32 v1, 0xcf800000, v2
	v_cvt_u32_f32_e32 v2, v2
	v_cvt_u32_f32_e32 v1, v1
	v_readfirstlane_b32 s29, v2
	v_readfirstlane_b32 s34, v1
	s_mul_i32 s40, s35, s29
	s_mul_hi_u32 s42, s35, s34
	s_mul_i32 s41, s39, s34
	s_add_i32 s40, s42, s40
	s_mul_i32 s43, s35, s34
	s_add_i32 s40, s40, s41
	s_mul_hi_u32 s42, s34, s43
	s_mul_hi_u32 s44, s29, s43
	s_mul_i32 s41, s29, s43
	s_mul_hi_u32 s43, s34, s40
	s_mul_i32 s34, s34, s40
	s_mul_hi_u32 s45, s29, s40
	s_add_u32 s34, s42, s34
	s_addc_u32 s42, 0, s43
	s_add_u32 s34, s34, s41
	s_mul_i32 s40, s29, s40
	s_addc_u32 s34, s42, s44
	s_addc_u32 s41, s45, 0
	s_add_u32 s34, s34, s40
	s_addc_u32 s40, 0, s41
	v_add_co_u32 v1, s34, v1, s34
	s_cmp_lg_u32 s34, 0
	s_addc_u32 s29, s29, s40
	v_readfirstlane_b32 s34, v1
	s_mul_i32 s40, s35, s29
	s_mul_hi_u32 s41, s35, s34
	s_mul_i32 s39, s39, s34
	s_add_i32 s40, s41, s40
	s_mul_i32 s35, s35, s34
	s_add_i32 s40, s40, s39
	s_mul_hi_u32 s41, s29, s35
	s_mul_i32 s42, s29, s35
	s_mul_hi_u32 s35, s34, s35
	s_mul_hi_u32 s43, s34, s40
	s_mul_i32 s34, s34, s40
	s_mul_hi_u32 s39, s29, s40
	s_add_u32 s34, s35, s34
	s_addc_u32 s35, 0, s43
	s_add_u32 s34, s34, s42
	s_mul_i32 s40, s29, s40
	s_addc_u32 s34, s35, s41
	s_addc_u32 s35, s39, 0
	s_add_u32 s34, s34, s40
	s_addc_u32 s35, 0, s35
	v_add_co_u32 v1, s34, v1, s34
	s_cmp_lg_u32 s34, 0
	s_addc_u32 s29, s29, s35
	v_readfirstlane_b32 s34, v1
	s_mul_i32 s39, s22, s29
	s_mul_hi_u32 s35, s22, s29
	s_mul_hi_u32 s40, s23, s29
	s_mul_i32 s29, s23, s29
	s_mul_hi_u32 s41, s22, s34
	s_mul_hi_u32 s42, s23, s34
	s_mul_i32 s34, s23, s34
	s_add_u32 s39, s41, s39
	s_addc_u32 s35, 0, s35
	s_add_u32 s34, s39, s34
	s_addc_u32 s34, s35, s42
	s_addc_u32 s35, s40, 0
	s_add_u32 s34, s34, s29
	s_addc_u32 s35, 0, s35
	s_mul_hi_u32 s29, s30, s34
	s_mul_i32 s40, s30, s35
	s_mul_i32 s41, s30, s34
	s_add_i32 s29, s29, s40
	v_sub_co_u32 v1, s40, s22, s41
	s_mul_i32 s39, s31, s34
	s_add_i32 s29, s29, s39
	v_sub_co_u32 v2, s41, v1, s30
	s_sub_i32 s39, s23, s29
	s_cmp_lg_u32 s40, 0
	s_subb_u32 s39, s39, s31
	s_cmp_lg_u32 s41, 0
	v_readfirstlane_b32 s41, v2
	s_subb_u32 s39, s39, 0
	s_cmp_ge_u32 s39, s31
	s_cselect_b32 s42, -1, 0
	s_cmp_ge_u32 s41, s30
	s_cselect_b32 s41, -1, 0
	s_cmp_eq_u32 s39, s31
	s_cselect_b32 s39, s41, s42
	s_add_u32 s41, s34, 1
	s_addc_u32 s42, s35, 0
	s_add_u32 s43, s34, 2
	s_addc_u32 s44, s35, 0
	s_cmp_lg_u32 s39, 0
	s_cselect_b32 s39, s43, s41
	s_cselect_b32 s41, s44, s42
	s_cmp_lg_u32 s40, 0
	v_readfirstlane_b32 s40, v1
	s_subb_u32 s29, s23, s29
	s_cmp_ge_u32 s29, s31
	s_cselect_b32 s42, -1, 0
	s_cmp_ge_u32 s40, s30
	s_cselect_b32 s40, -1, 0
	s_cmp_eq_u32 s29, s31
	s_cselect_b32 s29, s40, s42
	s_cmp_lg_u32 s29, 0
	s_mov_b32 s29, 0
	s_cselect_b32 s35, s41, s35
	s_cselect_b32 s34, s39, s34
.LBB0_6:                                ;   in Loop: Header=BB0_4 Depth=1
	s_andn2_b32 vcc_lo, exec_lo, s29
	s_cbranch_vccnz .LBB0_8
; %bb.7:                                ;   in Loop: Header=BB0_4 Depth=1
	v_cvt_f32_u32_e32 v1, s30
	s_sub_i32 s34, 0, s30
	v_rcp_iflag_f32_e32 v1, v1
	v_mul_f32_e32 v1, 0x4f7ffffe, v1
	v_cvt_u32_f32_e32 v1, v1
	v_readfirstlane_b32 s29, v1
	s_mul_i32 s34, s34, s29
	s_mul_hi_u32 s34, s29, s34
	s_add_i32 s29, s29, s34
	s_mul_hi_u32 s29, s22, s29
	s_mul_i32 s34, s29, s30
	s_add_i32 s35, s29, 1
	s_sub_i32 s34, s22, s34
	s_sub_i32 s39, s34, s30
	s_cmp_ge_u32 s34, s30
	s_cselect_b32 s29, s35, s29
	s_cselect_b32 s34, s39, s34
	s_add_i32 s35, s29, 1
	s_cmp_ge_u32 s34, s30
	s_cselect_b32 s34, s35, s29
	s_mov_b32 s35, s28
.LBB0_8:                                ;   in Loop: Header=BB0_4 Depth=1
	s_load_dwordx2 s[40:41], s[24:25], 0x0
	s_mul_i32 s21, s30, s21
	s_mul_hi_u32 s29, s30, s20
	s_mul_i32 s39, s31, s20
	s_mul_i32 s31, s34, s31
	s_mul_hi_u32 s42, s34, s30
	s_mul_i32 s43, s35, s30
	s_add_i32 s21, s29, s21
	s_add_i32 s29, s42, s31
	s_mul_i32 s44, s34, s30
	s_add_i32 s21, s21, s39
	s_add_i32 s29, s29, s43
	s_sub_u32 s22, s22, s44
	s_subb_u32 s23, s23, s29
	s_mul_i32 s20, s30, s20
	s_waitcnt lgkmcnt(0)
	s_mul_i32 s23, s40, s23
	s_mul_hi_u32 s29, s40, s22
	s_add_i32 s23, s29, s23
	s_mul_i32 s29, s41, s22
	s_mul_i32 s22, s40, s22
	s_add_i32 s23, s23, s29
	s_add_u32 s38, s22, s38
	s_addc_u32 s37, s23, s37
	s_add_u32 s26, s26, 1
	s_addc_u32 s27, s27, 0
	s_add_u32 s24, s24, 8
	v_cmp_ge_u64_e64 s22, s[26:27], s[10:11]
	s_addc_u32 s25, s25, 0
	s_add_u32 s12, s12, 8
	s_addc_u32 s13, s13, 0
	s_and_b32 vcc_lo, exec_lo, s22
	s_cbranch_vccnz .LBB0_10
; %bb.9:                                ;   in Loop: Header=BB0_4 Depth=1
	s_mov_b64 s[22:23], s[34:35]
	s_branch .LBB0_4
.LBB0_10:
	v_cmp_lt_u64_e64 s7, s[6:7], s[20:21]
	s_mov_b64 s[22:23], 0
	s_and_b32 vcc_lo, exec_lo, s7
	s_cbranch_vccnz .LBB0_12
; %bb.11:
	v_cvt_f32_u32_e32 v1, s20
	s_sub_i32 s12, 0, s20
	v_rcp_iflag_f32_e32 v1, v1
	v_mul_f32_e32 v1, 0x4f7ffffe, v1
	v_cvt_u32_f32_e32 v1, v1
	v_readfirstlane_b32 s7, v1
	s_mul_i32 s12, s12, s7
	s_mul_hi_u32 s12, s7, s12
	s_add_i32 s7, s7, s12
	s_mul_hi_u32 s7, s6, s7
	s_mul_i32 s12, s7, s20
	s_sub_i32 s6, s6, s12
	s_add_i32 s12, s7, 1
	s_sub_i32 s13, s6, s20
	s_cmp_ge_u32 s6, s20
	s_cselect_b32 s7, s12, s7
	s_cselect_b32 s6, s13, s6
	s_add_i32 s12, s7, 1
	s_cmp_ge_u32 s6, s20
	s_cselect_b32 s22, s12, s7
.LBB0_12:
	s_lshl_b64 s[6:7], s[10:11], 3
	v_mul_u32_u24_e32 v1, 0x2493, v0
	s_add_u32 s6, s14, s6
	s_addc_u32 s7, s15, s7
                                        ; implicit-def: $vgpr30
                                        ; implicit-def: $vgpr28
                                        ; implicit-def: $vgpr37
                                        ; implicit-def: $vgpr9
                                        ; implicit-def: $vgpr32
                                        ; implicit-def: $vgpr25
                                        ; implicit-def: $vgpr27
                                        ; implicit-def: $vgpr21
                                        ; implicit-def: $vgpr23
                                        ; implicit-def: $vgpr15
                                        ; implicit-def: $vgpr11
                                        ; implicit-def: $vgpr13
                                        ; implicit-def: $vgpr6
                                        ; implicit-def: $vgpr8
                                        ; implicit-def: $vgpr2
                                        ; implicit-def: $vgpr4
                                        ; implicit-def: $vgpr36
                                        ; implicit-def: $vgpr35
                                        ; implicit-def: $vgpr33
                                        ; implicit-def: $vgpr31
                                        ; implicit-def: $vgpr29
                                        ; implicit-def: $vgpr26
                                        ; implicit-def: $vgpr24
                                        ; implicit-def: $vgpr22
                                        ; implicit-def: $vgpr20
                                        ; implicit-def: $vgpr16
                                        ; implicit-def: $vgpr14
                                        ; implicit-def: $vgpr12
                                        ; implicit-def: $vgpr10
                                        ; implicit-def: $vgpr7
                                        ; implicit-def: $vgpr5
                                        ; implicit-def: $vgpr3
	s_load_dwordx2 s[6:7], s[6:7], 0x0
	v_lshrrev_b32_e32 v19, 16, v1
	v_mul_lo_u16 v1, v19, 7
	v_sub_nc_u16 v1, v0, v1
	v_and_b32_e32 v34, 0xffff, v1
                                        ; implicit-def: $vgpr1
	s_waitcnt lgkmcnt(0)
	s_mul_i32 s7, s7, s22
	s_mul_hi_u32 s10, s6, s22
	s_mul_i32 s6, s6, s22
	v_add_co_u32 v17, s11, s36, v34
	s_add_i32 s10, s10, s7
	v_add_co_ci_u32_e64 v18, null, s33, 0, s11
	s_add_u32 s6, s6, s38
	s_addc_u32 s7, s10, s37
	s_add_u32 s10, s36, 7
	s_addc_u32 s11, s33, 0
	v_cmp_gt_u64_e32 vcc_lo, s[18:19], v[17:18]
	v_cmp_le_u64_e64 s10, s[10:11], s[18:19]
                                        ; implicit-def: $vgpr18
	s_or_b32 s10, s10, vcc_lo
	s_and_saveexec_b32 s11, s10
	s_cbranch_execz .LBB0_14
; %bb.13:
	v_mad_u64_u32 v[1:2], null, s2, v34, 0
	v_mad_u64_u32 v[3:4], null, s0, v19, 0
	v_add_nc_u32_e32 v11, 17, v19
	v_add_nc_u32_e32 v12, 34, v19
	s_lshl_b64 s[12:13], s[6:7], 2
	v_add_nc_u32_e32 v13, 0x44, v19
	s_add_u32 s12, s4, s12
	v_mad_u64_u32 v[5:6], null, s0, v11, 0
	v_mad_u64_u32 v[7:8], null, s3, v34, v[2:3]
	s_addc_u32 s13, s5, s13
	v_add_nc_u32_e32 v22, 0x55, v19
	v_add_nc_u32_e32 v24, 0x66, v19
	;; [unrolled: 1-line block ×3, first 2 shown]
	v_mad_u64_u32 v[8:9], null, s1, v19, v[4:5]
	v_mov_b32_e32 v4, v6
	v_mov_b32_e32 v2, v7
	v_mad_u64_u32 v[9:10], null, s0, v12, 0
	v_mad_u64_u32 v[20:21], null, s0, v24, 0
	;; [unrolled: 1-line block ×3, first 2 shown]
	v_mov_b32_e32 v4, v8
	v_lshlrev_b64 v[1:2], 2, v[1:2]
	v_add_nc_u32_e32 v11, 51, v19
	v_mov_b32_e32 v7, v10
	v_mad_u64_u32 v[29:30], null, s0, v25, 0
	v_lshlrev_b64 v[3:4], 2, v[3:4]
	v_add_co_u32 v16, vcc_lo, s12, v1
	v_add_co_ci_u32_e32 v18, vcc_lo, s13, v2, vcc_lo
	v_mad_u64_u32 v[1:2], null, s0, v11, 0
	v_mad_u64_u32 v[7:8], null, s1, v12, v[7:8]
	v_add_co_u32 v3, vcc_lo, v16, v3
	v_lshlrev_b64 v[5:6], 2, v[5:6]
	v_add_co_ci_u32_e32 v4, vcc_lo, v18, v4, vcc_lo
	v_mad_u64_u32 v[11:12], null, s1, v11, v[2:3]
	v_mov_b32_e32 v10, v7
	v_mad_u64_u32 v[7:8], null, s0, v13, 0
	v_add_co_u32 v5, vcc_lo, v16, v5
	v_lshlrev_b64 v[9:10], 2, v[9:10]
	v_mov_b32_e32 v2, v11
	v_mad_u64_u32 v[11:12], null, s0, v22, 0
	v_add_co_ci_u32_e32 v6, vcc_lo, v18, v6, vcc_lo
	v_mad_u64_u32 v[13:14], null, s1, v13, v[8:9]
	v_add_co_u32 v14, vcc_lo, v16, v9
	v_mov_b32_e32 v9, v12
	v_add_co_ci_u32_e32 v15, vcc_lo, v18, v10, vcc_lo
	v_lshlrev_b64 v[1:2], 2, v[1:2]
	v_mov_b32_e32 v8, v13
	v_mad_u64_u32 v[9:10], null, s1, v22, v[9:10]
	v_add_nc_u32_e32 v13, 0x77, v19
	v_mov_b32_e32 v10, v21
	v_lshlrev_b64 v[7:8], 2, v[7:8]
	v_add_co_u32 v1, vcc_lo, v16, v1
	v_mad_u64_u32 v[22:23], null, s0, v13, 0
	v_mov_b32_e32 v12, v9
	v_mad_u64_u32 v[9:10], null, s1, v24, v[10:11]
	v_add_nc_u32_e32 v24, 0x88, v19
	v_add_co_ci_u32_e32 v2, vcc_lo, v18, v2, vcc_lo
	v_lshlrev_b64 v[11:12], 2, v[11:12]
	v_mov_b32_e32 v10, v23
	v_mad_u64_u32 v[26:27], null, s0, v24, 0
	v_mov_b32_e32 v21, v9
	v_add_co_u32 v7, vcc_lo, v16, v7
	v_mad_u64_u32 v[9:10], null, s1, v13, v[10:11]
	v_add_co_ci_u32_e32 v8, vcc_lo, v18, v8, vcc_lo
	v_add_co_u32 v10, vcc_lo, v16, v11
	v_add_co_ci_u32_e32 v11, vcc_lo, v18, v12, vcc_lo
	v_mov_b32_e32 v23, v9
	v_lshlrev_b64 v[12:13], 2, v[20:21]
	v_mov_b32_e32 v9, v27
	v_add_nc_u32_e32 v33, 0xaa, v19
	v_lshlrev_b64 v[20:21], 2, v[22:23]
	v_mad_u64_u32 v[22:23], null, s1, v24, v[9:10]
	v_add_co_u32 v12, vcc_lo, v16, v12
	v_mov_b32_e32 v9, v30
	v_add_co_ci_u32_e32 v13, vcc_lo, v18, v13, vcc_lo
	v_add_co_u32 v23, vcc_lo, v16, v20
	v_add_co_ci_u32_e32 v24, vcc_lo, v18, v21, vcc_lo
	v_mad_u64_u32 v[20:21], null, s1, v25, v[9:10]
	s_clause 0x7
	global_load_dword v28, v[3:4], off
	global_load_dword v9, v[5:6], off
	;; [unrolled: 1-line block ×8, first 2 shown]
	v_mov_b32_e32 v27, v22
	v_mad_u64_u32 v[31:32], null, s0, v33, 0
	v_add_nc_u32_e32 v22, 0xbb, v19
	v_add_nc_u32_e32 v5, 0xcc, v19
	v_mov_b32_e32 v30, v20
	v_lshlrev_b64 v[3:4], 2, v[26:27]
	v_add_nc_u32_e32 v10, 0xdd, v19
	v_mad_u64_u32 v[7:8], null, s0, v22, 0
	v_mov_b32_e32 v1, v32
	v_add_co_u32 v3, vcc_lo, v16, v3
	v_add_co_ci_u32_e32 v4, vcc_lo, v18, v4, vcc_lo
	s_waitcnt vmcnt(0)
	v_mad_u64_u32 v[12:13], null, s1, v33, v[1:2]
	v_mov_b32_e32 v1, v8
	v_lshlrev_b64 v[13:14], 2, v[29:30]
	v_mad_u64_u32 v[29:30], null, s0, v10, 0
	v_mad_u64_u32 v[22:23], null, s1, v22, v[1:2]
	;; [unrolled: 1-line block ×3, first 2 shown]
	v_mov_b32_e32 v32, v12
	v_add_co_u32 v12, vcc_lo, v16, v13
	v_add_co_ci_u32_e32 v13, vcc_lo, v18, v14, vcc_lo
	v_add_nc_u32_e32 v14, 0xee, v19
	v_mov_b32_e32 v1, v24
	v_lshlrev_b64 v[26:27], 2, v[31:32]
	v_mov_b32_e32 v8, v22
	v_mad_u64_u32 v[31:32], null, s1, v5, v[1:2]
	v_mad_u64_u32 v[32:33], null, s0, v14, 0
	v_mov_b32_e32 v1, v30
	v_add_nc_u32_e32 v5, 0xff, v19
	v_lshlrev_b64 v[7:8], 2, v[7:8]
	v_add_co_u32 v26, vcc_lo, v16, v26
	v_mov_b32_e32 v24, v31
	v_mad_u64_u32 v[30:31], null, s1, v10, v[1:2]
	v_mov_b32_e32 v1, v33
	v_add_nc_u32_e32 v10, 0x110, v19
	v_mad_u64_u32 v[35:36], null, s0, v5, 0
	v_add_co_ci_u32_e32 v27, vcc_lo, v18, v27, vcc_lo
	v_mad_u64_u32 v[37:38], null, s1, v14, v[1:2]
	v_mad_u64_u32 v[38:39], null, s0, v10, 0
	v_add_co_u32 v40, vcc_lo, v16, v7
	v_mov_b32_e32 v1, v36
	v_add_co_ci_u32_e32 v41, vcc_lo, v18, v8, vcc_lo
	v_lshlrev_b64 v[7:8], 2, v[23:24]
	v_mov_b32_e32 v33, v37
	v_mad_u64_u32 v[22:23], null, s1, v5, v[1:2]
	v_mov_b32_e32 v1, v39
	v_add_co_u32 v23, vcc_lo, v16, v7
	v_add_co_ci_u32_e32 v24, vcc_lo, v18, v8, vcc_lo
	v_lshlrev_b64 v[7:8], 2, v[29:30]
	v_mad_u64_u32 v[29:30], null, s1, v10, v[1:2]
	v_mov_b32_e32 v36, v22
	v_lshlrev_b64 v[30:31], 2, v[32:33]
	v_add_co_u32 v32, vcc_lo, v16, v7
	v_add_co_ci_u32_e32 v33, vcc_lo, v18, v8, vcc_lo
	v_mov_b32_e32 v39, v29
	v_lshlrev_b64 v[7:8], 2, v[35:36]
	v_add_co_u32 v29, vcc_lo, v16, v30
	v_add_co_ci_u32_e32 v30, vcc_lo, v18, v31, vcc_lo
	v_lshlrev_b64 v[35:36], 2, v[38:39]
	v_add_co_u32 v37, vcc_lo, v16, v7
	v_add_co_ci_u32_e32 v38, vcc_lo, v18, v8, vcc_lo
	v_lshrrev_b32_e32 v8, 16, v2
	v_add_co_u32 v35, vcc_lo, v16, v35
	v_add_co_ci_u32_e32 v36, vcc_lo, v18, v36, vcc_lo
	s_clause 0x8
	global_load_dword v1, v[3:4], off
	global_load_dword v3, v[12:13], off
	;; [unrolled: 1-line block ×9, first 2 shown]
	v_lshrrev_b32_e32 v30, 16, v28
	v_lshrrev_b32_e32 v37, 16, v9
	;; [unrolled: 1-line block ×7, first 2 shown]
	s_waitcnt vmcnt(8)
	v_lshrrev_b32_e32 v4, 16, v1
	s_waitcnt vmcnt(7)
	v_lshrrev_b32_e32 v5, 16, v3
	;; [unrolled: 2-line block ×9, first 2 shown]
.LBB0_14:
	s_or_b32 exec_lo, exec_lo, s11
	v_add_f16_e32 v38, v28, v9
	v_add_f16_e32 v39, v30, v37
	;; [unrolled: 1-line block ×4, first 2 shown]
	v_sub_f16_e32 v42, v9, v35
	v_add_f16_e32 v38, v38, v25
	v_add_f16_e32 v39, v39, v32
	v_sub_f16_e32 v37, v37, v36
	v_mul_f16_e32 v9, 0x3b76, v40
	v_mul_f16_e32 v44, 0x39e9, v40
	v_add_f16_e32 v38, v38, v21
	v_add_f16_e32 v39, v39, v27
	v_mul_f16_e32 v46, 0x3722, v40
	v_fmamk_f16 v53, v37, 0x35c8, v9
	v_fmac_f16_e32 v9, 0xb5c8, v37
	v_add_f16_e32 v38, v38, v15
	v_add_f16_e32 v39, v39, v23
	v_mul_f16_e32 v48, 0x2de8, v40
	v_mul_f16_e32 v50, 0xb461, v40
	v_add_f16_e32 v65, v28, v9
	v_add_f16_e32 v38, v38, v11
	;; [unrolled: 1-line block ×3, first 2 shown]
	v_mul_f16_e32 v51, 0xb8d2, v40
	v_mul_f16_e32 v52, 0xbacd, v40
	;; [unrolled: 1-line block ×3, first 2 shown]
	v_add_f16_e32 v38, v38, v6
	v_add_f16_e32 v39, v39, v13
	v_mul_f16_e32 v43, 0xb5c8, v42
	v_mul_f16_e32 v45, 0xb964, v42
	;; [unrolled: 1-line block ×3, first 2 shown]
	v_add_f16_e32 v38, v38, v2
	v_add_f16_e32 v39, v39, v8
	v_mul_f16_e32 v49, 0xbbf7, v42
	v_fmamk_f16 v55, v37, 0x3964, v44
	v_fmac_f16_e32 v44, 0xb964, v37
	v_add_f16_e32 v38, v38, v1
	v_add_f16_e32 v39, v39, v4
	v_fmamk_f16 v57, v37, 0x3b29, v46
	v_fmac_f16_e32 v46, 0xbb29, v37
	v_fmamk_f16 v59, v37, 0x3bf7, v48
	v_add_f16_e32 v38, v38, v3
	v_add_f16_e32 v39, v39, v5
	v_fmac_f16_e32 v48, 0xbbf7, v37
	v_fmamk_f16 v61, v37, 0x3bb2, v50
	v_fmac_f16_e32 v50, 0xbbb2, v37
	v_add_f16_e32 v38, v7, v38
	v_add_f16_e32 v39, v10, v39
	v_fmamk_f16 v62, v37, 0x3a62, v51
	v_fmac_f16_e32 v51, 0xba62, v37
	v_fmamk_f16 v63, v37, 0x3836, v52
	v_add_f16_e32 v38, v12, v38
	v_add_f16_e32 v39, v14, v39
	v_fmac_f16_e32 v52, 0xb836, v37
	v_fmamk_f16 v64, v37, 0x31e1, v40
	v_fmac_f16_e32 v40, 0xb1e1, v37
	v_add_f16_e32 v38, v16, v38
	v_add_f16_e32 v39, v20, v39
	v_fmamk_f16 v54, v41, 0x3b76, v43
	v_fmamk_f16 v56, v41, 0x39e9, v45
	;; [unrolled: 1-line block ×3, first 2 shown]
	v_add_f16_e32 v38, v22, v38
	v_add_f16_e32 v39, v24, v39
	v_fmamk_f16 v60, v41, 0x2de8, v49
	v_add_f16_e32 v53, v28, v53
	v_add_f16_e32 v44, v28, v44
	v_add_f16_e32 v38, v26, v38
	v_add_f16_e32 v39, v29, v39
	v_add_f16_e32 v37, v28, v50
	v_add_f16_e32 v50, v28, v62
	v_add_f16_e32 v51, v28, v51
	v_add_f16_e32 v9, v31, v38
	v_add_f16_e32 v38, v33, v39
	v_add_f16_e32 v39, v28, v55
	v_add_f16_e32 v55, v28, v57
	v_add_f16_e32 v57, v28, v63
	v_add_f16_e32 v9, v35, v9
	v_add_f16_sdwa v35, v36, v38 dst_sel:WORD_1 dst_unused:UNUSED_PAD src0_sel:DWORD src1_sel:DWORD
	v_add_f16_e32 v36, v28, v46
	v_add_f16_e32 v38, v28, v59
	;; [unrolled: 1-line block ×4, first 2 shown]
	v_or_b32_sdwa v9, v35, v9 dst_sel:DWORD dst_unused:UNUSED_PAD src0_sel:DWORD src1_sel:WORD_0
	v_mul_f16_e32 v35, 0xbbb2, v42
	v_add_f16_e32 v52, v28, v52
	v_add_f16_e32 v59, v28, v64
	;; [unrolled: 1-line block ×3, first 2 shown]
	v_mul_f16_e32 v40, 0xba62, v42
	v_fmamk_f16 v61, v41, 0xb461, v35
	v_mul_f16_e32 v62, 0xb836, v42
	v_mul_f16_e32 v42, 0xb1e1, v42
	v_fma_f16 v43, v41, 0x3b76, -v43
	v_fma_f16 v45, v41, 0x39e9, -v45
	;; [unrolled: 1-line block ×5, first 2 shown]
	v_fmamk_f16 v63, v41, 0xb8d2, v40
	v_fma_f16 v40, v41, 0xb8d2, -v40
	v_fmamk_f16 v64, v41, 0xbacd, v62
	v_fma_f16 v62, v41, 0xbacd, -v62
	;; [unrolled: 2-line block ×3, first 2 shown]
	v_add_f16_e32 v42, v30, v54
	v_add_f16_e32 v54, v30, v56
	v_add_f16_e32 v56, v30, v58
	v_add_f16_e32 v58, v30, v60
	v_add_f16_e32 v60, v30, v61
	v_add_f16_e32 v61, v25, v31
	v_sub_f16_e32 v25, v25, v31
	v_sub_f16_e32 v31, v32, v33
	v_add_f16_e32 v32, v32, v33
	v_add_f16_e32 v43, v30, v43
	v_mul_f16_e32 v67, 0x39e9, v61
	v_mul_f16_e32 v33, 0xb964, v25
	v_add_f16_e32 v45, v30, v45
	v_add_f16_e32 v47, v30, v47
	;; [unrolled: 1-line block ×8, first 2 shown]
	v_fmamk_f16 v68, v31, 0x3964, v67
	v_add_f16_e32 v66, v30, v66
	v_add_f16_e32 v30, v30, v41
	v_fmamk_f16 v41, v32, 0x39e9, v33
	v_mul_f16_e32 v69, 0x2de8, v61
	v_fma_f16 v33, v32, 0x39e9, -v33
	v_add_f16_e32 v53, v53, v68
	v_fmac_f16_e32 v67, 0xb964, v31
	v_add_f16_e32 v41, v42, v41
	v_fmamk_f16 v42, v31, 0x3bf7, v69
	v_mul_f16_e32 v68, 0xbbf7, v25
	v_add_f16_e32 v33, v43, v33
	v_mul_f16_e32 v43, 0xb8d2, v61
	v_add_f16_e32 v65, v65, v67
	v_add_f16_e32 v39, v39, v42
	v_fmamk_f16 v42, v32, 0x2de8, v68
	v_fmac_f16_e32 v69, 0xbbf7, v31
	v_fma_f16 v67, v32, 0x2de8, -v68
	v_fmamk_f16 v68, v31, 0x3a62, v43
	v_mul_f16_e32 v70, 0xba62, v25
	v_add_f16_e32 v42, v54, v42
	v_add_f16_e32 v44, v44, v69
	;; [unrolled: 1-line block ×4, first 2 shown]
	v_fmamk_f16 v55, v32, 0xb8d2, v70
	v_mul_f16_e32 v67, 0xbbdd, v61
	v_fmac_f16_e32 v43, 0xba62, v31
	v_fma_f16 v68, v32, 0xb8d2, -v70
	v_mul_f16_e32 v69, 0xb1e1, v25
	v_add_f16_e32 v55, v56, v55
	v_fmamk_f16 v56, v31, 0x31e1, v67
	v_add_f16_e32 v36, v36, v43
	v_add_f16_e32 v43, v47, v68
	v_fmamk_f16 v47, v32, 0xbbdd, v69
	v_mul_f16_e32 v68, 0xbacd, v61
	v_add_f16_e32 v38, v38, v56
	v_fmac_f16_e32 v67, 0xb1e1, v31
	v_fma_f16 v56, v32, 0xbbdd, -v69
	v_add_f16_e32 v47, v58, v47
	v_fmamk_f16 v58, v31, 0xb836, v68
	v_mul_f16_e32 v69, 0x3836, v25
	v_add_f16_e32 v46, v46, v67
	v_add_f16_e32 v49, v49, v56
	v_mul_f16_e32 v56, 0xb461, v61
	v_add_f16_e32 v48, v48, v58
	v_fmamk_f16 v58, v32, 0xbacd, v69
	v_fmac_f16_e32 v68, 0x3836, v31
	v_fma_f16 v67, v32, 0xbacd, -v69
	v_mul_f16_e32 v70, 0x3bb2, v25
	v_fmamk_f16 v69, v31, 0xbbb2, v56
	v_add_f16_e32 v58, v60, v58
	v_add_f16_e32 v37, v37, v68
	;; [unrolled: 1-line block ×3, first 2 shown]
	v_fmamk_f16 v60, v32, 0xb461, v70
	v_fmac_f16_e32 v56, 0x3bb2, v31
	v_mul_f16_e32 v67, 0x3722, v61
	v_mul_f16_e32 v68, 0x3b29, v25
	;; [unrolled: 1-line block ×3, first 2 shown]
	v_add_f16_e32 v60, v63, v60
	v_add_f16_e32 v51, v51, v56
	v_fmamk_f16 v56, v31, 0xbb29, v67
	v_fmamk_f16 v63, v32, 0x3722, v68
	v_fmac_f16_e32 v67, 0x3b29, v31
	v_mul_f16_e32 v25, 0x35c8, v25
	v_add_f16_e32 v50, v50, v69
	v_add_f16_e32 v56, v57, v56
	;; [unrolled: 1-line block ×4, first 2 shown]
	v_fma_f16 v64, v32, 0x3722, -v68
	v_add_f16_e32 v67, v21, v26
	v_sub_f16_e32 v21, v21, v26
	v_fma_f16 v69, v32, 0xb461, -v70
	v_fmamk_f16 v63, v31, 0xb5c8, v61
	v_fmac_f16_e32 v61, 0x35c8, v31
	v_fmamk_f16 v31, v32, 0x3b76, v25
	v_fma_f16 v25, v32, 0x3b76, -v25
	v_add_f16_e32 v32, v62, v64
	v_sub_f16_e32 v26, v27, v29
	v_mul_f16_e32 v62, 0x3722, v67
	v_add_f16_e32 v27, v27, v29
	v_mul_f16_e32 v29, 0xbb29, v21
	v_add_f16_e32 v59, v59, v63
	v_add_f16_e32 v28, v28, v61
	v_fmamk_f16 v63, v26, 0x3b29, v62
	v_add_f16_e32 v25, v30, v25
	v_mul_f16_e32 v30, 0xb8d2, v67
	v_fmamk_f16 v61, v27, 0x3722, v29
	v_fma_f16 v29, v27, 0x3722, -v29
	v_add_f16_e32 v53, v53, v63
	v_fmac_f16_e32 v62, 0xbb29, v26
	v_fmamk_f16 v63, v26, 0x3a62, v30
	v_add_f16_e32 v41, v41, v61
	v_mul_f16_e32 v61, 0xba62, v21
	v_add_f16_e32 v29, v33, v29
	v_fmac_f16_e32 v30, 0xba62, v26
	v_add_f16_e32 v33, v39, v63
	v_mul_f16_e32 v39, 0xbbdd, v67
	v_fmamk_f16 v63, v27, 0xb8d2, v61
	v_fma_f16 v61, v27, 0xb8d2, -v61
	v_mul_f16_e32 v64, 0x31e1, v21
	v_add_f16_e32 v62, v65, v62
	v_fmamk_f16 v65, v26, 0xb1e1, v39
	v_add_f16_e32 v42, v42, v63
	v_add_f16_e32 v30, v44, v30
	v_add_f16_e32 v44, v45, v61
	v_fmamk_f16 v45, v27, 0xbbdd, v64
	v_mul_f16_e32 v61, 0xb461, v67
	v_fmac_f16_e32 v39, 0x31e1, v26
	v_fma_f16 v63, v27, 0xbbdd, -v64
	v_add_f16_e32 v40, v40, v69
	v_add_f16_e32 v45, v55, v45
	v_mul_f16_e32 v55, 0x3bb2, v21
	v_fmamk_f16 v64, v26, 0xbbb2, v61
	v_add_f16_e32 v36, v36, v39
	v_add_f16_e32 v39, v43, v63
	v_mul_f16_e32 v43, 0x39e9, v67
	v_fmamk_f16 v63, v27, 0xb461, v55
	v_add_f16_e32 v38, v38, v64
	v_fmac_f16_e32 v61, 0x3bb2, v26
	v_fma_f16 v55, v27, 0xb461, -v55
	v_fmamk_f16 v64, v26, 0xb964, v43
	v_add_f16_e32 v47, v47, v63
	v_mul_f16_e32 v63, 0x3964, v21
	v_fmac_f16_e32 v43, 0x3964, v26
	v_add_f16_e32 v46, v46, v61
	v_add_f16_e32 v48, v48, v64
	v_mul_f16_e32 v64, 0xb5c8, v21
	v_fmamk_f16 v61, v27, 0x39e9, v63
	v_fma_f16 v63, v27, 0x39e9, -v63
	v_add_f16_e32 v37, v37, v43
	v_add_f16_e32 v49, v49, v55
	v_fmamk_f16 v43, v27, 0x3b76, v64
	v_mul_f16_e32 v55, 0x3b76, v67
	v_add_f16_e32 v35, v35, v63
	v_fma_f16 v63, v27, 0x3b76, -v64
	v_add_f16_e32 v54, v54, v65
	v_add_f16_e32 v43, v60, v43
	v_mul_f16_e32 v60, 0xbbf7, v21
	v_fmamk_f16 v65, v26, 0x35c8, v55
	v_add_f16_e32 v58, v58, v61
	v_mul_f16_e32 v61, 0x2de8, v67
	v_fmac_f16_e32 v55, 0xb5c8, v26
	v_add_f16_e32 v40, v40, v63
	v_fmamk_f16 v63, v27, 0x2de8, v60
	v_fma_f16 v60, v27, 0x2de8, -v60
	v_fmamk_f16 v64, v26, 0x3bf7, v61
	v_add_f16_e32 v51, v51, v55
	v_mul_f16_e32 v55, 0xbacd, v67
	v_fmac_f16_e32 v61, 0xbbf7, v26
	v_mul_f16_e32 v21, 0xb836, v21
	v_add_f16_e32 v32, v32, v60
	v_add_f16_e32 v60, v15, v22
	;; [unrolled: 1-line block ×4, first 2 shown]
	v_fmamk_f16 v64, v26, 0x3836, v55
	v_add_f16_e32 v52, v52, v61
	v_fmamk_f16 v61, v27, 0xbacd, v21
	v_sub_f16_e32 v15, v15, v22
	v_fmac_f16_e32 v55, 0xb836, v26
	v_sub_f16_e32 v22, v23, v24
	v_mul_f16_e32 v26, 0x2de8, v60
	v_add_f16_e32 v23, v23, v24
	v_mul_f16_e32 v24, 0xbbf7, v15
	v_fma_f16 v21, v27, 0xbacd, -v21
	v_add_f16_e32 v27, v31, v61
	v_fmamk_f16 v31, v22, 0x3bf7, v26
	v_add_f16_e32 v28, v28, v55
	v_fmamk_f16 v55, v23, 0x2de8, v24
	v_add_f16_e32 v21, v25, v21
	v_mul_f16_e32 v25, 0xbbdd, v60
	v_add_f16_e32 v31, v53, v31
	v_fma_f16 v24, v23, 0x2de8, -v24
	v_mul_f16_e32 v53, 0xb1e1, v15
	v_add_f16_e32 v41, v41, v55
	v_fmamk_f16 v61, v22, 0x31e1, v25
	v_mul_f16_e32 v55, 0xb461, v60
	v_add_f16_e32 v24, v29, v24
	v_fmamk_f16 v29, v23, 0xbbdd, v53
	v_fmac_f16_e32 v25, 0xb1e1, v22
	v_add_f16_e32 v33, v33, v61
	v_mul_f16_e32 v61, 0x3bb2, v15
	v_fma_f16 v53, v23, 0xbbdd, -v53
	v_add_f16_e32 v29, v42, v29
	v_fmamk_f16 v42, v22, 0xbbb2, v55
	v_fmac_f16_e32 v26, 0xbbf7, v22
	v_add_f16_e32 v25, v30, v25
	v_fmamk_f16 v30, v23, 0xb461, v61
	v_add_f16_e32 v44, v44, v53
	v_mul_f16_e32 v53, 0x3b76, v60
	v_add_f16_e32 v42, v54, v42
	v_fma_f16 v54, v23, 0xb461, -v61
	v_mul_f16_e32 v61, 0x35c8, v15
	v_add_f16_e32 v26, v62, v26
	v_fmac_f16_e32 v55, 0x3bb2, v22
	v_fmamk_f16 v62, v22, 0xb5c8, v53
	v_add_f16_e32 v30, v45, v30
	v_add_f16_e32 v39, v39, v54
	v_fmamk_f16 v45, v23, 0x3b76, v61
	v_mul_f16_e32 v54, 0x3722, v60
	v_add_f16_e32 v36, v36, v55
	v_add_f16_e32 v38, v38, v62
	v_fmac_f16_e32 v53, 0x35c8, v22
	v_mul_f16_e32 v55, 0xbb29, v15
	v_add_f16_e32 v45, v47, v45
	v_fma_f16 v47, v23, 0x3b76, -v61
	v_fmamk_f16 v61, v22, 0x3b29, v54
	v_mul_f16_e32 v62, 0xbacd, v60
	v_add_f16_e32 v50, v50, v65
	v_add_f16_e32 v46, v46, v53
	v_fmamk_f16 v53, v23, 0x3722, v55
	v_add_f16_e32 v47, v49, v47
	v_add_f16_e32 v48, v48, v61
	v_fmac_f16_e32 v54, 0xbb29, v22
	v_fma_f16 v49, v23, 0x3722, -v55
	v_fmamk_f16 v55, v22, 0x3836, v62
	v_mul_f16_e32 v61, 0xb836, v15
	v_add_f16_e32 v53, v58, v53
	v_add_f16_e32 v37, v37, v54
	;; [unrolled: 1-line block ×4, first 2 shown]
	v_fmamk_f16 v50, v23, 0xbacd, v61
	v_mul_f16_e32 v54, 0xb8d2, v60
	v_mul_f16_e32 v55, 0x3a62, v15
	v_fma_f16 v58, v23, 0xbacd, -v61
	v_add_f16_e32 v57, v57, v63
	v_add_f16_e32 v43, v43, v50
	v_fmamk_f16 v50, v22, 0xba62, v54
	v_fmamk_f16 v61, v23, 0xb8d2, v55
	v_add_f16_e32 v40, v40, v58
	v_mul_f16_e32 v58, 0x39e9, v60
	v_fmac_f16_e32 v54, 0x3a62, v22
	v_add_f16_e32 v59, v59, v64
	v_add_f16_e32 v50, v56, v50
	;; [unrolled: 1-line block ×3, first 2 shown]
	v_fma_f16 v55, v23, 0xb8d2, -v55
	v_fmamk_f16 v57, v22, 0xb964, v58
	v_mul_f16_e32 v15, 0x3964, v15
	v_add_f16_e32 v52, v52, v54
	v_add_f16_e32 v54, v11, v16
	v_sub_f16_e32 v11, v11, v16
	v_add_f16_e32 v32, v32, v55
	v_add_f16_e32 v55, v59, v57
	v_fmamk_f16 v57, v23, 0x39e9, v15
	v_sub_f16_e32 v59, v18, v20
	v_mul_f16_e32 v60, 0xb461, v54
	v_fmac_f16_e32 v58, 0x3964, v22
	v_fma_f16 v15, v23, 0x39e9, -v15
	v_add_f16_e32 v16, v18, v20
	v_mul_f16_e32 v20, 0xbbb2, v11
	v_fmac_f16_e32 v62, 0xb836, v22
	v_fmamk_f16 v18, v59, 0x3bb2, v60
	v_add_f16_e32 v22, v27, v57
	v_add_f16_e32 v23, v28, v58
	;; [unrolled: 1-line block ×3, first 2 shown]
	v_fmamk_f16 v21, v16, 0xb461, v20
	v_mul_f16_e32 v27, 0xbacd, v54
	v_fma_f16 v20, v16, 0xb461, -v20
	v_mul_f16_e32 v28, 0x3836, v11
	v_add_f16_e32 v18, v31, v18
	v_add_f16_e32 v21, v41, v21
	v_fmamk_f16 v31, v59, 0xb836, v27
	v_add_f16_e32 v20, v24, v20
	v_fmamk_f16 v24, v16, 0xbacd, v28
	v_mul_f16_e32 v41, 0x39e9, v54
	v_fmac_f16_e32 v27, 0x3836, v59
	v_fma_f16 v28, v16, 0xbacd, -v28
	v_add_f16_e32 v31, v33, v31
	v_add_f16_e32 v24, v29, v24
	v_fmamk_f16 v29, v59, 0xb964, v41
	v_mul_f16_e32 v33, 0x3964, v11
	v_add_f16_e32 v25, v25, v27
	v_add_f16_e32 v27, v44, v28
	v_mul_f16_e32 v28, 0x3722, v54
	v_add_f16_e32 v29, v42, v29
	v_fmamk_f16 v42, v16, 0x39e9, v33
	v_fmac_f16_e32 v41, 0x3964, v59
	v_fma_f16 v33, v16, 0x39e9, -v33
	v_fmamk_f16 v44, v59, 0x3b29, v28
	v_mul_f16_e32 v57, 0xbb29, v11
	v_add_f16_e32 v30, v30, v42
	v_add_f16_e32 v36, v36, v41
	;; [unrolled: 1-line block ×4, first 2 shown]
	v_fmamk_f16 v39, v16, 0x3722, v57
	v_mul_f16_e32 v41, 0xbbdd, v54
	v_fmac_f16_e32 v28, 0xbb29, v59
	v_fma_f16 v42, v16, 0x3722, -v57
	v_mul_f16_e32 v44, 0xb1e1, v11
	v_add_f16_e32 v39, v45, v39
	v_fmamk_f16 v45, v59, 0x31e1, v41
	v_add_f16_e32 v28, v46, v28
	v_add_f16_e32 v42, v47, v42
	v_fmamk_f16 v46, v16, 0xbbdd, v44
	v_mul_f16_e32 v47, 0x2de8, v54
	v_fmac_f16_e32 v41, 0xb1e1, v59
	v_add_f16_e32 v45, v48, v45
	v_fma_f16 v44, v16, 0xbbdd, -v44
	v_add_f16_e32 v46, v53, v46
	v_fmamk_f16 v48, v59, 0xbbf7, v47
	v_mul_f16_e32 v53, 0x3bf7, v11
	v_add_f16_e32 v37, v37, v41
	v_mul_f16_e32 v41, 0x3b76, v54
	v_add_f16_e32 v51, v51, v62
	v_add_f16_e32 v35, v35, v44
	;; [unrolled: 1-line block ×3, first 2 shown]
	v_fmamk_f16 v48, v16, 0x2de8, v53
	v_fmac_f16_e32 v47, 0x3bf7, v59
	v_fma_f16 v49, v16, 0x2de8, -v53
	v_fmamk_f16 v53, v59, 0x35c8, v41
	v_mul_f16_e32 v57, 0xb5c8, v11
	v_add_f16_e32 v43, v43, v48
	v_add_f16_e32 v47, v51, v47
	v_mul_f16_e32 v11, 0xba62, v11
	v_add_f16_e32 v48, v50, v53
	v_mul_f16_e32 v50, 0xb8d2, v54
	v_fma_f16 v51, v16, 0x3b76, -v57
	v_fmac_f16_e32 v41, 0xb5c8, v59
	v_fmamk_f16 v54, v16, 0xb8d2, v11
	v_fma_f16 v11, v16, 0xb8d2, -v11
	v_fmamk_f16 v53, v59, 0x3a62, v50
	v_add_f16_e32 v32, v32, v51
	v_add_f16_e32 v51, v6, v12
	v_sub_f16_e32 v6, v6, v12
	v_add_f16_e32 v41, v52, v41
	v_add_f16_e32 v52, v55, v53
	v_sub_f16_e32 v12, v13, v14
	v_mul_f16_e32 v53, 0xb8d2, v51
	v_fmac_f16_e32 v50, 0xba62, v59
	v_add_f16_e32 v13, v13, v14
	v_mul_f16_e32 v14, 0xba62, v6
	v_fmac_f16_e32 v60, 0xbbb2, v59
	v_add_f16_e32 v40, v40, v49
	v_fmamk_f16 v49, v16, 0x3b76, v57
	v_fmamk_f16 v16, v12, 0x3a62, v53
	v_add_f16_e32 v23, v23, v50
	v_add_f16_e32 v11, v15, v11
	v_mul_f16_e32 v15, 0xb461, v51
	v_fmamk_f16 v50, v13, 0xb8d2, v14
	v_add_f16_e32 v26, v26, v60
	v_add_f16_e32 v16, v18, v16
	v_fmac_f16_e32 v53, 0xba62, v12
	v_fmamk_f16 v18, v12, 0xbbb2, v15
	v_add_f16_e32 v21, v21, v50
	v_mul_f16_e32 v50, 0x3bb2, v6
	v_fma_f16 v14, v13, 0xb8d2, -v14
	v_add_f16_e32 v26, v26, v53
	v_add_f16_e32 v18, v31, v18
	v_fmac_f16_e32 v15, 0x3bb2, v12
	v_fmamk_f16 v31, v13, 0xb461, v50
	v_fma_f16 v50, v13, 0xb461, -v50
	v_mul_f16_e32 v53, 0xb5c8, v6
	v_add_f16_e32 v14, v20, v14
	v_mul_f16_e32 v20, 0x3b76, v51
	v_add_f16_e32 v15, v25, v15
	v_add_f16_e32 v25, v27, v50
	v_fmamk_f16 v27, v13, 0x3b76, v53
	v_add_f16_e32 v22, v22, v54
	v_fmamk_f16 v54, v12, 0x35c8, v20
	v_add_f16_e32 v24, v24, v31
	v_mul_f16_e32 v31, 0xbacd, v51
	v_fmac_f16_e32 v20, 0xb5c8, v12
	v_fma_f16 v50, v13, 0x3b76, -v53
	v_add_f16_e32 v27, v30, v27
	v_mul_f16_e32 v30, 0xb836, v6
	v_fmamk_f16 v53, v12, 0x3836, v31
	v_add_f16_e32 v20, v36, v20
	v_add_f16_e32 v33, v33, v50
	v_mul_f16_e32 v36, 0x2de8, v51
	v_fmamk_f16 v50, v13, 0xbacd, v30
	v_add_f16_e32 v38, v38, v53
	v_fmac_f16_e32 v31, 0xb836, v12
	v_fma_f16 v30, v13, 0xbacd, -v30
	v_fmamk_f16 v53, v12, 0xbbf7, v36
	v_add_f16_e32 v39, v39, v50
	v_mul_f16_e32 v50, 0x3bf7, v6
	v_add_f16_e32 v28, v28, v31
	v_fmac_f16_e32 v36, 0x3bf7, v12
	v_add_f16_e32 v31, v45, v53
	v_mul_f16_e32 v53, 0xb964, v6
	v_fmamk_f16 v45, v13, 0x2de8, v50
	v_add_f16_e32 v30, v42, v30
	v_mul_f16_e32 v42, 0x39e9, v51
	v_fma_f16 v50, v13, 0x2de8, -v50
	v_add_f16_e32 v36, v37, v36
	v_add_f16_e32 v45, v46, v45
	v_fmamk_f16 v37, v13, 0x39e9, v53
	v_mul_f16_e32 v46, 0xbbdd, v51
	v_add_f16_e32 v29, v29, v54
	v_fmamk_f16 v54, v12, 0x3964, v42
	v_add_f16_e32 v35, v35, v50
	v_fmac_f16_e32 v42, 0xb964, v12
	v_fma_f16 v50, v13, 0x39e9, -v53
	v_add_f16_e32 v37, v43, v37
	v_mul_f16_e32 v43, 0xb1e1, v6
	v_fmamk_f16 v53, v12, 0x31e1, v46
	v_fmac_f16_e32 v46, 0xb1e1, v12
	v_add_f16_e32 v49, v56, v49
	v_add_f16_e32 v42, v47, v42
	;; [unrolled: 1-line block ×3, first 2 shown]
	v_mul_f16_e32 v47, 0x3722, v51
	v_fmamk_f16 v50, v13, 0xbbdd, v43
	v_mul_f16_e32 v6, 0x3b29, v6
	v_add_f16_e32 v41, v41, v46
	v_add_f16_e32 v46, v2, v7
	v_sub_f16_e32 v2, v2, v7
	v_fmamk_f16 v51, v12, 0xbb29, v47
	v_add_f16_e32 v49, v49, v50
	v_fmamk_f16 v50, v13, 0x3722, v6
	v_fmac_f16_e32 v47, 0x3b29, v12
	v_sub_f16_e32 v7, v8, v10
	v_mul_f16_e32 v12, 0xbacd, v46
	v_fma_f16 v6, v13, 0x3722, -v6
	v_add_f16_e32 v8, v8, v10
	v_mul_f16_e32 v10, 0xb836, v2
	v_fma_f16 v43, v13, 0xbbdd, -v43
	v_add_f16_e32 v13, v22, v50
	v_fmamk_f16 v22, v7, 0x3836, v12
	v_add_f16_e32 v23, v23, v47
	v_add_f16_e32 v6, v11, v6
	v_fmamk_f16 v11, v8, 0xbacd, v10
	v_mul_f16_e32 v47, 0x3722, v46
	v_fma_f16 v10, v8, 0xbacd, -v10
	v_add_f16_e32 v16, v16, v22
	v_fmac_f16_e32 v12, 0xb836, v7
	v_add_f16_e32 v11, v21, v11
	v_fmamk_f16 v21, v7, 0xbb29, v47
	v_mul_f16_e32 v22, 0x3b29, v2
	v_add_f16_e32 v10, v14, v10
	v_mul_f16_e32 v14, 0x2de8, v46
	v_add_f16_e32 v12, v26, v12
	v_add_f16_e32 v18, v18, v21
	v_fmamk_f16 v21, v8, 0x3722, v22
	v_fma_f16 v22, v8, 0x3722, -v22
	v_fmamk_f16 v26, v7, 0x3bf7, v14
	v_mul_f16_e32 v50, 0xbbf7, v2
	v_fmac_f16_e32 v47, 0x3b29, v7
	v_add_f16_e32 v21, v24, v21
	v_add_f16_e32 v22, v25, v22
	;; [unrolled: 1-line block ×3, first 2 shown]
	v_fmamk_f16 v25, v8, 0x2de8, v50
	v_mul_f16_e32 v26, 0xb8d2, v46
	v_add_f16_e32 v15, v15, v47
	v_fmac_f16_e32 v14, 0xbbf7, v7
	v_fma_f16 v29, v8, 0x2de8, -v50
	v_mul_f16_e32 v47, 0x3a62, v2
	v_add_f16_e32 v25, v27, v25
	v_fmamk_f16 v27, v7, 0xba62, v26
	v_add_f16_e32 v14, v20, v14
	v_add_f16_e32 v20, v33, v29
	v_fmamk_f16 v29, v8, 0xb8d2, v47
	v_mul_f16_e32 v33, 0x3b76, v46
	v_add_f16_e32 v27, v38, v27
	v_fmac_f16_e32 v26, 0x3a62, v7
	v_fma_f16 v38, v8, 0xb8d2, -v47
	v_add_f16_e32 v29, v39, v29
	v_fmamk_f16 v39, v7, 0x35c8, v33
	v_mul_f16_e32 v47, 0xb5c8, v2
	v_add_f16_e32 v26, v28, v26
	v_add_f16_e32 v28, v30, v38
	v_mul_f16_e32 v30, 0xbbdd, v46
	v_add_f16_e32 v44, v44, v54
	v_add_f16_e32 v31, v31, v39
	v_fmamk_f16 v38, v8, 0x3b76, v47
	v_fmac_f16_e32 v33, 0xb5c8, v7
	v_fma_f16 v39, v8, 0x3b76, -v47
	v_fmamk_f16 v47, v7, 0x31e1, v30
	v_mul_f16_e32 v50, 0xb1e1, v2
	v_add_f16_e32 v48, v48, v53
	v_add_f16_e32 v33, v36, v33
	;; [unrolled: 1-line block ×4, first 2 shown]
	v_fmamk_f16 v39, v8, 0xbbdd, v50
	v_mul_f16_e32 v44, 0x39e9, v46
	v_fma_f16 v47, v8, 0xbbdd, -v50
	v_mul_f16_e32 v46, 0xb461, v46
	v_add_f16_e32 v32, v32, v43
	v_add_f16_e32 v37, v37, v39
	v_fmamk_f16 v39, v7, 0xb964, v44
	v_fmac_f16_e32 v44, 0x3964, v7
	v_add_f16_e32 v43, v52, v51
	v_add_f16_e32 v38, v45, v38
	v_fmac_f16_e32 v30, 0xb1e1, v7
	v_mul_f16_e32 v45, 0x3964, v2
	v_add_f16_e32 v40, v40, v47
	v_fmamk_f16 v47, v7, 0x3bb2, v46
	v_add_f16_e32 v41, v41, v44
	v_add_f16_e32 v44, v1, v3
	;; [unrolled: 1-line block ×3, first 2 shown]
	v_fmamk_f16 v42, v8, 0x39e9, v45
	v_add_f16_e32 v39, v48, v39
	v_fma_f16 v45, v8, 0x39e9, -v45
	v_mul_f16_e32 v2, 0xbbb2, v2
	v_add_f16_e32 v43, v43, v47
	v_sub_f16_e32 v47, v4, v5
	v_mul_f16_e32 v48, 0xbbdd, v44
	v_sub_f16_e32 v1, v1, v3
	v_add_f16_e32 v32, v32, v45
	v_fmamk_f16 v45, v8, 0xb461, v2
	v_fma_f16 v2, v8, 0xb461, -v2
	v_add_f16_e32 v3, v4, v5
	v_fmamk_f16 v4, v47, 0x31e1, v48
	v_mul_f16_e32 v5, 0xb1e1, v1
	v_fmac_f16_e32 v46, 0xbbb2, v7
	v_add_f16_e32 v7, v13, v45
	v_add_f16_e32 v2, v6, v2
	;; [unrolled: 1-line block ×3, first 2 shown]
	v_fmamk_f16 v6, v3, 0xbbdd, v5
	v_mul_f16_e32 v13, 0x3b76, v44
	v_fma_f16 v5, v3, 0xbbdd, -v5
	v_mul_f16_e32 v16, 0x35c8, v1
	v_add_f16_e32 v8, v23, v46
	v_add_f16_e32 v6, v11, v6
	v_fmamk_f16 v11, v47, 0xb5c8, v13
	v_add_f16_e32 v5, v10, v5
	v_fmamk_f16 v10, v3, 0x3b76, v16
	v_mul_f16_e32 v23, 0xbacd, v44
	v_fmac_f16_e32 v13, 0x35c8, v47
	v_add_f16_e32 v11, v18, v11
	v_fma_f16 v16, v3, 0x3b76, -v16
	v_add_f16_e32 v10, v21, v10
	v_fmamk_f16 v18, v47, 0x3836, v23
	v_mul_f16_e32 v21, 0xb836, v1
	v_add_f16_e32 v13, v15, v13
	v_add_f16_e32 v15, v22, v16
	v_mul_f16_e32 v16, 0x39e9, v44
	v_add_f16_e32 v22, v24, v18
	v_fmamk_f16 v18, v3, 0xbacd, v21
	v_fmac_f16_e32 v23, 0xb836, v47
	v_mul_f16_e32 v45, 0x3964, v1
	v_fma_f16 v21, v3, 0xbacd, -v21
	v_fmamk_f16 v24, v47, 0xb964, v16
	v_add_f16_e32 v25, v25, v18
	v_add_f16_e32 v14, v14, v23
	v_fmamk_f16 v18, v3, 0x39e9, v45
	v_mul_f16_e32 v23, 0xb8d2, v44
	v_add_f16_e32 v20, v20, v21
	v_add_f16_e32 v21, v27, v24
	v_fmac_f16_e32 v16, 0x3964, v47
	v_fma_f16 v24, v3, 0x39e9, -v45
	v_mul_f16_e32 v27, 0xba62, v1
	v_add_f16_e32 v29, v29, v18
	v_fmamk_f16 v18, v47, 0x3a62, v23
	v_add_f16_e32 v16, v26, v16
	v_add_f16_e32 v24, v28, v24
	v_fmamk_f16 v26, v3, 0xb8d2, v27
	v_mul_f16_e32 v28, 0x3722, v44
	v_add_f16_e32 v31, v31, v18
	v_fmac_f16_e32 v23, 0xba62, v47
	v_fma_f16 v18, v3, 0xb8d2, -v27
	v_add_f16_e32 v26, v38, v26
	v_fmamk_f16 v27, v47, 0xbb29, v28
	v_mul_f16_e32 v38, 0x3b29, v1
	v_add_f16_e32 v23, v33, v23
	v_add_f16_e32 v33, v35, v18
	v_mul_f16_e32 v18, 0xb461, v44
	v_add_f16_e32 v27, v36, v27
	v_fmamk_f16 v35, v3, 0x3722, v38
	v_fmac_f16_e32 v28, 0x3b29, v47
	v_fma_f16 v36, v3, 0x3722, -v38
	v_fmamk_f16 v38, v47, 0x3bb2, v18
	v_mul_f16_e32 v45, 0xbbb2, v1
	v_fmac_f16_e32 v18, 0xbbb2, v47
	v_add_f16_e32 v28, v30, v28
	v_add_f16_e32 v30, v40, v36
	v_add_f16_e32 v36, v39, v38
	v_fma_f16 v38, v3, 0xb461, -v45
	v_mul_f16_e32 v39, 0x2de8, v44
	v_mul_f16_e32 v1, 0x3bf7, v1
	v_add_f16_e32 v42, v49, v42
	v_add_f16_e32 v35, v37, v35
	v_fmamk_f16 v37, v3, 0xb461, v45
	v_add_f16_e32 v40, v41, v18
	v_add_f16_e32 v32, v32, v38
	v_fmamk_f16 v38, v47, 0xbbf7, v39
	v_fmamk_f16 v41, v3, 0x2de8, v1
	v_fmac_f16_e32 v39, 0x3bf7, v47
	v_fma_f16 v1, v3, 0x2de8, -v1
	v_add_f16_e32 v37, v42, v37
	v_mul_u32_u24_e32 v42, 0x1dc, v19
	v_lshlrev_b32_e32 v18, 2, v34
	v_fmac_f16_e32 v48, 0xb1e1, v47
	v_add_f16_e32 v38, v43, v38
	v_add_f16_e32 v7, v7, v41
	;; [unrolled: 1-line block ×4, first 2 shown]
	v_add3_u32 v3, 0, v42, v18
	v_pack_b32_f16 v4, v4, v6
	v_pack_b32_f16 v6, v11, v10
	;; [unrolled: 1-line block ×5, first 2 shown]
	v_add_f16_e32 v12, v12, v48
	v_pack_b32_f16 v22, v27, v35
	v_pack_b32_f16 v25, v36, v37
	v_pack_b32_f16 v2, v38, v7
	v_pack_b32_f16 v1, v8, v1
	ds_write2_b32 v3, v9, v4 offset1:7
	ds_write2_b32 v3, v6, v10 offset0:14 offset1:21
	ds_write2_b32 v3, v11, v21 offset0:28 offset1:35
	ds_write2_b32 v3, v22, v25 offset0:42 offset1:49
	v_pack_b32_f16 v4, v40, v32
	v_pack_b32_f16 v6, v28, v30
	;; [unrolled: 1-line block ×7, first 2 shown]
	ds_write2_b32 v3, v2, v1 offset0:56 offset1:63
	ds_write2_b32 v3, v4, v6 offset0:70 offset1:77
	;; [unrolled: 1-line block ×4, first 2 shown]
	ds_write_b32 v3, v5 offset:448
	s_waitcnt lgkmcnt(0)
	s_barrier
	buffer_gl0_inv
	s_and_saveexec_b32 s11, s10
	s_cbranch_execz .LBB0_16
; %bb.15:
	v_mul_lo_u16 v1, v19, 31
	v_mov_b32_e32 v36, 2
	v_lshrrev_b16 v1, 9, v1
	v_mul_lo_u16 v1, v1, 17
	v_sub_nc_u16 v1, v19, v1
	v_mul_u32_u24_e32 v19, 28, v19
	v_and_b32_e32 v35, 0xff, v1
	v_add3_u32 v38, 0, v19, v18
	v_add_nc_u32_e32 v20, 0x110, v35
	v_add_nc_u32_e32 v21, 0xff, v35
	v_lshlrev_b32_e32 v13, 6, v35
	v_add_nc_u32_e32 v22, 0xee, v35
	v_add_nc_u32_e32 v23, 0xdd, v35
	v_mul_lo_u32 v20, v17, v20
	v_mul_lo_u32 v21, v17, v21
	s_clause 0x3
	global_load_dwordx4 v[5:8], v13, s[16:17] offset:16
	global_load_dwordx4 v[1:4], v13, s[16:17] offset:32
	global_load_dwordx4 v[9:12], v13, s[16:17]
	global_load_dwordx4 v[13:16], v13, s[16:17] offset:48
	v_mul_lo_u32 v22, v17, v22
	v_mul_lo_u32 v23, v17, v23
	v_add_nc_u32_e32 v40, 0x200, v38
	v_lshlrev_b32_sdwa v24, v36, v20 dst_sel:DWORD dst_unused:UNUSED_PAD src0_sel:DWORD src1_sel:BYTE_0
	v_lshlrev_b32_sdwa v25, v36, v20 dst_sel:DWORD dst_unused:UNUSED_PAD src0_sel:DWORD src1_sel:BYTE_1
	v_lshlrev_b32_sdwa v26, v36, v21 dst_sel:DWORD dst_unused:UNUSED_PAD src0_sel:DWORD src1_sel:BYTE_0
	v_lshlrev_b32_sdwa v27, v36, v21 dst_sel:DWORD dst_unused:UNUSED_PAD src0_sel:DWORD src1_sel:BYTE_1
	;; [unrolled: 2-line block ×4, first 2 shown]
	s_clause 0x7
	global_load_dword v90, v24, s[8:9]
	global_load_dword v91, v25, s[8:9] offset:1024
	global_load_dword v108, v26, s[8:9]
	global_load_dword v123, v27, s[8:9] offset:1024
	;; [unrolled: 2-line block ×4, first 2 shown]
	v_add_nc_u32_e32 v25, 0xbb, v35
	v_add_nc_u32_e32 v24, 0xcc, v35
	v_bfe_u32 v22, v22, 16, 8
	v_bfe_u32 v21, v21, 16, 8
	;; [unrolled: 1-line block ×3, first 2 shown]
	v_mul_lo_u32 v37, v17, v25
	v_mul_lo_u32 v39, v17, v24
	v_bfe_u32 v23, v23, 16, 8
	v_lshl_or_b32 v22, v22, 2, 0x800
	v_lshl_or_b32 v21, v21, 2, 0x800
	;; [unrolled: 1-line block ×4, first 2 shown]
	v_bfe_u32 v25, v37, 16, 8
	v_bfe_u32 v24, v39, 16, 8
	v_lshlrev_b32_sdwa v26, v36, v39 dst_sel:DWORD dst_unused:UNUSED_PAD src0_sel:DWORD src1_sel:BYTE_1
	v_lshlrev_b32_sdwa v39, v36, v39 dst_sel:DWORD dst_unused:UNUSED_PAD src0_sel:DWORD src1_sel:BYTE_0
	v_lshl_or_b32 v25, v25, 2, 0x800
	v_lshl_or_b32 v24, v24, 2, 0x800
	s_clause 0x6
	global_load_dword v155, v22, s[8:9]
	global_load_dword v156, v21, s[8:9]
	;; [unrolled: 1-line block ×3, first 2 shown]
	global_load_dword v141, v26, s[8:9] offset:1024
	global_load_dword v130, v25, s[8:9]
	global_load_dword v140, v24, s[8:9]
	;; [unrolled: 1-line block ×3, first 2 shown]
	v_add_nc_u32_e32 v20, 0xe00, v38
	v_add_nc_u32_e32 v21, 0xa00, v38
	v_add_nc_u32_e32 v23, 0x600, v38
	v_add_nc_u32_e32 v22, 0x1200, v38
	v_add_nc_u32_e32 v26, 0x1600, v38
	ds_read2_b32 v[28:29], v20 offset0:56 offset1:175
	v_add_nc_u32_e32 v20, 0x1800, v38
	ds_read2_b32 v[18:19], v38 offset1:119
	ds_read_b32 v56, v38 offset:7616
	ds_read2_b32 v[32:33], v21 offset0:74 offset1:193
	ds_read2_b32 v[30:31], v22 offset0:38 offset1:157
	;; [unrolled: 1-line block ×6, first 2 shown]
	global_load_dword v142, v39, s[8:9]
	v_add_nc_u32_e32 v39, 0xaa, v35
	v_add_nc_u32_e32 v40, 0x99, v35
	ds_read_u16 v57, v38 offset:1430
	v_mul_lo_u32 v38, v17, v39
	v_mul_lo_u32 v39, v17, v40
	v_lshlrev_b32_sdwa v40, v36, v37 dst_sel:DWORD dst_unused:UNUSED_PAD src0_sel:DWORD src1_sel:BYTE_0
	v_lshlrev_b32_sdwa v37, v36, v37 dst_sel:DWORD dst_unused:UNUSED_PAD src0_sel:DWORD src1_sel:BYTE_1
	s_clause 0x1
	global_load_dword v176, v40, s[8:9]
	global_load_dword v179, v37, s[8:9] offset:1024
	v_lshlrev_b32_sdwa v41, v36, v38 dst_sel:DWORD dst_unused:UNUSED_PAD src0_sel:DWORD src1_sel:BYTE_0
	v_bfe_u32 v43, v39, 16, 8
	v_lshlrev_b32_sdwa v42, v36, v38 dst_sel:DWORD dst_unused:UNUSED_PAD src0_sel:DWORD src1_sel:BYTE_1
	v_bfe_u32 v38, v38, 16, 8
	v_lshlrev_b32_sdwa v44, v36, v39 dst_sel:DWORD dst_unused:UNUSED_PAD src0_sel:DWORD src1_sel:BYTE_0
	v_lshlrev_b32_sdwa v39, v36, v39 dst_sel:DWORD dst_unused:UNUSED_PAD src0_sel:DWORD src1_sel:BYTE_1
	v_lshl_or_b32 v37, v43, 2, 0x800
	global_load_dword v148, v42, s[8:9] offset:1024
	v_lshl_or_b32 v38, v38, 2, 0x800
	s_clause 0x4
	global_load_dword v145, v39, s[8:9] offset:1024
	global_load_dword v146, v44, s[8:9]
	global_load_dword v127, v37, s[8:9]
	;; [unrolled: 1-line block ×4, first 2 shown]
	s_waitcnt lgkmcnt(8)
	v_lshrrev_b32_e32 v58, 16, v19
	s_waitcnt lgkmcnt(7)
	v_lshrrev_b32_e32 v59, 16, v56
	;; [unrolled: 2-line block ×4, first 2 shown]
	v_lshrrev_b32_e32 v49, 16, v28
	v_lshrrev_b32_e32 v60, 16, v29
	;; [unrolled: 1-line block ×6, first 2 shown]
	s_waitcnt lgkmcnt(1)
	v_lshrrev_b32_e32 v69, 16, v22
	v_lshrrev_b32_e32 v70, 16, v21
	;; [unrolled: 1-line block ×5, first 2 shown]
	s_waitcnt vmcnt(27)
	v_mul_f16_sdwa v46, v33, v7 dst_sel:DWORD dst_unused:UNUSED_PAD src0_sel:DWORD src1_sel:WORD_1
	v_mul_f16_sdwa v48, v25, v5 dst_sel:DWORD dst_unused:UNUSED_PAD src0_sel:DWORD src1_sel:WORD_1
	s_waitcnt vmcnt(25)
	v_mul_f16_sdwa v55, v9, v19 dst_sel:DWORD dst_unused:UNUSED_PAD src0_sel:WORD_1 src1_sel:DWORD
	s_waitcnt vmcnt(24)
	v_mul_f16_sdwa v37, v56, v16 dst_sel:DWORD dst_unused:UNUSED_PAD src0_sel:DWORD src1_sel:WORD_1
	v_mul_f16_sdwa v73, v64, v5 dst_sel:DWORD dst_unused:UNUSED_PAD src0_sel:DWORD src1_sel:WORD_1
	;; [unrolled: 1-line block ×3, first 2 shown]
	v_mul_f16_sdwa v54, v10, v22 dst_sel:DWORD dst_unused:UNUSED_PAD src0_sel:WORD_1 src1_sel:DWORD
	v_mul_f16_sdwa v38, v21, v15 dst_sel:DWORD dst_unused:UNUSED_PAD src0_sel:DWORD src1_sel:WORD_1
	v_mul_f16_sdwa v84, v9, v58 dst_sel:DWORD dst_unused:UNUSED_PAD src0_sel:WORD_1 src1_sel:DWORD
	v_mul_f16_sdwa v85, v59, v16 dst_sel:DWORD dst_unused:UNUSED_PAD src0_sel:DWORD src1_sel:WORD_1
	v_fmac_f16_e32 v55, v9, v58
	v_fmac_f16_e32 v37, v59, v16
	v_mul_f16_sdwa v51, v53, v7 dst_sel:DWORD dst_unused:UNUSED_PAD src0_sel:DWORD src1_sel:WORD_1
	v_mul_f16_sdwa v71, v62, v6 dst_sel:DWORD dst_unused:UNUSED_PAD src0_sel:DWORD src1_sel:WORD_1
	;; [unrolled: 1-line block ×12, first 2 shown]
	v_mul_f16_sdwa v52, v11, v23 dst_sel:DWORD dst_unused:UNUSED_PAD src0_sel:WORD_1 src1_sel:DWORD
	v_mul_f16_sdwa v39, v20, v14 dst_sel:DWORD dst_unused:UNUSED_PAD src0_sel:DWORD src1_sel:WORD_1
	v_mul_f16_sdwa v82, v10, v69 dst_sel:DWORD dst_unused:UNUSED_PAD src0_sel:WORD_1 src1_sel:DWORD
	v_mul_f16_sdwa v83, v70, v15 dst_sel:DWORD dst_unused:UNUSED_PAD src0_sel:DWORD src1_sel:WORD_1
	v_fmac_f16_e32 v46, v53, v7
	v_fmac_f16_e32 v48, v64, v5
	v_fma_f16 v53, v25, v5, -v73
	v_fma_f16 v25, v26, v4, -v77
	v_fmac_f16_e32 v54, v10, v69
	v_fmac_f16_e32 v38, v70, v15
	v_fma_f16 v26, v9, v19, -v84
	v_fma_f16 v5, v56, v16, -v85
	v_sub_f16_e32 v151, v55, v37
	v_add_f16_e32 v154, v55, v37
	v_mul_f16_sdwa v47, v32, v6 dst_sel:DWORD dst_unused:UNUSED_PAD src0_sel:DWORD src1_sel:WORD_1
	v_mul_f16_sdwa v40, v27, v13 dst_sel:DWORD dst_unused:UNUSED_PAD src0_sel:DWORD src1_sel:WORD_1
	;; [unrolled: 1-line block ×3, first 2 shown]
	s_waitcnt lgkmcnt(0)
	v_mul_f16_sdwa v80, v57, v11 dst_sel:DWORD dst_unused:UNUSED_PAD src0_sel:DWORD src1_sel:WORD_1
	v_mul_f16_sdwa v81, v68, v14 dst_sel:DWORD dst_unused:UNUSED_PAD src0_sel:DWORD src1_sel:WORD_1
	v_fma_f16 v33, v33, v7, -v51
	v_fma_f16 v51, v32, v6, -v71
	v_fmac_f16_e32 v44, v49, v8
	v_fma_f16 v49, v28, v8, -v72
	v_fma_f16 v32, v29, v1, -v74
	;; [unrolled: 1-line block ×4, first 2 shown]
	v_fmac_f16_e32 v45, v60, v1
	v_fmac_f16_e32 v43, v61, v2
	;; [unrolled: 1-line block ×7, first 2 shown]
	v_fma_f16 v10, v10, v22, -v82
	v_fma_f16 v7, v21, v15, -v83
	v_sub_f16_e32 v143, v54, v38
	v_add_f16_e32 v66, v26, v5
	s_waitcnt vmcnt(23)
	v_lshrrev_b32_e32 v1, 16, v90
	s_waitcnt vmcnt(22)
	v_mul_f16_sdwa v2, v90, v91 dst_sel:DWORD dst_unused:UNUSED_PAD src0_sel:DWORD src1_sel:WORD_1
	s_waitcnt vmcnt(21)
	v_lshrrev_b32_e32 v3, 16, v108
	s_waitcnt vmcnt(20)
	v_mul_f16_sdwa v4, v108, v123 dst_sel:DWORD dst_unused:UNUSED_PAD src0_sel:DWORD src1_sel:WORD_1
	;; [unrolled: 4-line block ×3, first 2 shown]
	s_waitcnt vmcnt(17)
	v_lshrrev_b32_e32 v161, 16, v126
	v_mul_f16_e32 v77, 0xb5c8, v151
	v_add_f16_e32 v153, v54, v38
	v_sub_f16_e32 v65, v26, v5
	s_waitcnt vmcnt(16)
	v_mul_f16_sdwa v162, v126, v129 dst_sel:DWORD dst_unused:UNUSED_PAD src0_sel:DWORD src1_sel:WORD_1
	v_mul_f16_e32 v74, 0x3b76, v154
	v_mul_f16_e32 v87, 0x39e9, v154
	;; [unrolled: 1-line block ×3, first 2 shown]
	v_mul_f16_sdwa v79, v67, v13 dst_sel:DWORD dst_unused:UNUSED_PAD src0_sel:DWORD src1_sel:WORD_1
	v_fmac_f16_e32 v47, v62, v6
	v_fmac_f16_e32 v40, v67, v13
	v_fma_f16 v11, v11, v23, -v80
	v_fma_f16 v8, v20, v14, -v81
	v_sub_f16_e32 v137, v52, v39
	v_add_f16_e32 v19, v10, v7
	v_mul_f16_e32 v62, 0xb964, v143
	v_mul_f16_e32 v120, 0x2de8, v154
	v_mul_f16_sdwa v163, v1, v91 dst_sel:DWORD dst_unused:UNUSED_PAD src0_sel:DWORD src1_sel:WORD_1
	v_fmac_f16_e32 v2, v1, v91
	v_mul_f16_sdwa v1, v3, v123 dst_sel:DWORD dst_unused:UNUSED_PAD src0_sel:DWORD src1_sel:WORD_1
	v_fmac_f16_e32 v4, v3, v123
	;; [unrolled: 2-line block ×3, first 2 shown]
	v_mul_f16_sdwa v159, v161, v129 dst_sel:DWORD dst_unused:UNUSED_PAD src0_sel:DWORD src1_sel:WORD_1
	v_fmamk_f16 v164, v66, 0x3b76, v77
	v_add_f16_e32 v150, v52, v39
	v_sub_f16_e32 v59, v10, v7
	v_mul_f16_e32 v71, 0x39e9, v153
	v_mul_f16_e32 v89, 0xb964, v151
	;; [unrolled: 1-line block ×3, first 2 shown]
	v_fmac_f16_e32 v162, v161, v129
	v_fmamk_f16 v161, v65, 0x35c8, v74
	v_mul_f16_e32 v84, 0x2de8, v153
	v_mul_f16_e32 v102, 0xb8d2, v153
	;; [unrolled: 1-line block ×3, first 2 shown]
	v_fmamk_f16 v181, v65, 0x3964, v87
	v_fmamk_f16 v194, v65, 0x3b29, v104
	v_fma_f16 v24, v24, v12, -v78
	v_fma_f16 v6, v27, v13, -v79
	v_add_f16_e32 v15, v11, v8
	v_sub_f16_e32 v136, v50, v40
	v_mul_f16_e32 v61, 0xbb29, v137
	v_fmamk_f16 v166, v19, 0x39e9, v62
	v_fmamk_f16 v198, v65, 0x3bf7, v120
	v_fma_f16 v90, v90, v91, -v163
	v_fma_f16 v1, v108, v123, -v1
	;; [unrolled: 1-line block ×4, first 2 shown]
	s_waitcnt vmcnt(15)
	v_mul_f16_sdwa v125, v160, v155 dst_sel:DWORD dst_unused:UNUSED_PAD src0_sel:DWORD src1_sel:WORD_1
	v_add_f16_e32 v129, v164, v18
	v_sub_f16_e32 v22, v11, v8
	v_add_f16_e32 v152, v50, v40
	v_mul_f16_e32 v69, 0x3722, v150
	v_mul_f16_e32 v88, 0xbbf7, v143
	;; [unrolled: 1-line block ×3, first 2 shown]
	v_fmamk_f16 v165, v59, 0x3964, v71
	v_fmamk_f16 v183, v66, 0x39e9, v89
	;; [unrolled: 1-line block ×3, first 2 shown]
	s_waitcnt vmcnt(13)
	v_mul_f16_sdwa v91, v2, v157 dst_sel:DWORD dst_unused:UNUSED_PAD src0_sel:DWORD src1_sel:WORD_1
	v_mul_f16_sdwa v123, v4, v156 dst_sel:DWORD dst_unused:UNUSED_PAD src0_sel:DWORD src1_sel:WORD_1
	v_add_f16_sdwa v128, v161, v18 dst_sel:DWORD dst_unused:UNUSED_PAD src0_sel:DWORD src1_sel:WORD_1
	v_mul_f16_e32 v83, 0xb8d2, v150
	v_mul_f16_e32 v101, 0xbbdd, v150
	v_fmamk_f16 v182, v59, 0x3bf7, v84
	v_fmamk_f16 v195, v59, 0x3a62, v102
	;; [unrolled: 1-line block ×3, first 2 shown]
	s_waitcnt vmcnt(9)
	v_mul_f16_sdwa v126, v162, v158 dst_sel:DWORD dst_unused:UNUSED_PAD src0_sel:DWORD src1_sel:WORD_1
	v_add_f16_sdwa v159, v181, v18 dst_sel:DWORD dst_unused:UNUSED_PAD src0_sel:DWORD src1_sel:WORD_1
	v_add_f16_sdwa v163, v194, v18 dst_sel:DWORD dst_unused:UNUSED_PAD src0_sel:DWORD src1_sel:WORD_1
	v_add_f16_e32 v16, v24, v6
	v_sub_f16_e32 v135, v48, v41
	v_mul_f16_e32 v60, 0xbbf7, v136
	v_fmamk_f16 v168, v15, 0x3722, v61
	v_add_f16_sdwa v181, v198, v18 dst_sel:DWORD dst_unused:UNUSED_PAD src0_sel:DWORD src1_sel:WORD_1
	v_mul_f16_sdwa v194, v90, v157 dst_sel:DWORD dst_unused:UNUSED_PAD src0_sel:DWORD src1_sel:WORD_1
	v_mul_f16_sdwa v198, v3, v155 dst_sel:DWORD dst_unused:UNUSED_PAD src0_sel:DWORD src1_sel:WORD_1
	v_fma_f16 v125, v155, v3, -v125
	v_add_f16_e32 v3, v166, v129
	v_sub_f16_e32 v58, v24, v6
	v_add_f16_e32 v144, v48, v41
	v_mul_f16_e32 v70, 0x2de8, v152
	v_mul_f16_e32 v86, 0xba62, v137
	;; [unrolled: 1-line block ×3, first 2 shown]
	v_fmamk_f16 v167, v22, 0x3b29, v69
	v_fmamk_f16 v184, v19, 0x2de8, v88
	;; [unrolled: 1-line block ×3, first 2 shown]
	v_add_f16_e32 v161, v183, v18
	v_add_f16_e32 v164, v196, v18
	v_fma_f16 v90, v157, v90, -v91
	v_mul_f16_sdwa v91, v1, v156 dst_sel:DWORD dst_unused:UNUSED_PAD src0_sel:DWORD src1_sel:WORD_1
	v_fma_f16 v196, v156, v1, -v123
	v_add_f16_e32 v1, v165, v128
	v_mul_f16_e32 v99, 0xb461, v152
	v_fmamk_f16 v185, v22, 0x3a62, v83
	v_fmamk_f16 v205, v22, 0xb1e1, v101
	v_add_f16_e32 v183, v200, v18
	v_mul_f16_sdwa v200, v108, v158 dst_sel:DWORD dst_unused:UNUSED_PAD src0_sel:DWORD src1_sel:WORD_1
	v_fma_f16 v123, v158, v108, -v126
	v_add_f16_e32 v108, v182, v159
	v_add_f16_e32 v128, v195, v163
	;; [unrolled: 1-line block ×3, first 2 shown]
	v_sub_f16_e32 v134, v47, v42
	v_mul_f16_e32 v27, 0xbbb2, v135
	v_mul_f16_e32 v122, 0xb1e1, v143
	v_fmamk_f16 v170, v16, 0x2de8, v60
	v_fmac_f16_e32 v194, v157, v2
	v_add_f16_e32 v2, v168, v3
	v_sub_f16_e32 v57, v53, v25
	v_add_f16_e32 v139, v47, v42
	v_mul_f16_e32 v68, 0xb461, v144
	v_mul_f16_e32 v81, 0xbbdd, v152
	;; [unrolled: 1-line block ×4, first 2 shown]
	v_fmamk_f16 v169, v58, 0x3bf7, v70
	v_fmamk_f16 v186, v15, 0xb8d2, v86
	;; [unrolled: 1-line block ×3, first 2 shown]
	v_add_f16_e32 v126, v184, v161
	v_add_f16_e32 v129, v197, v164
	v_add_f16_e32 v1, v167, v1
	v_mul_f16_e32 v97, 0x39e9, v144
	v_fmamk_f16 v207, v58, 0xbbb2, v99
	v_add_f16_e32 v3, v185, v108
	v_add_f16_e32 v108, v205, v128
	;; [unrolled: 1-line block ×3, first 2 shown]
	v_sub_f16_e32 v133, v46, v43
	v_mul_f16_e32 v23, 0xba62, v134
	v_mul_f16_e32 v118, 0xbbdd, v153
	;; [unrolled: 1-line block ×3, first 2 shown]
	v_fmamk_f16 v172, v14, 0xb461, v27
	v_fmamk_f16 v201, v19, 0xbbdd, v122
	v_add_f16_e32 v2, v170, v2
	v_sub_f16_e32 v56, v51, v28
	v_add_f16_e32 v138, v46, v43
	v_mul_f16_e32 v67, 0xb8d2, v139
	v_mul_f16_e32 v79, 0xbacd, v144
	;; [unrolled: 1-line block ×4, first 2 shown]
	v_fmamk_f16 v171, v57, 0x3bb2, v68
	v_fmamk_f16 v187, v58, 0x31e1, v81
	;; [unrolled: 1-line block ×4, first 2 shown]
	v_fmac_f16_e32 v91, v156, v4
	v_add_f16_e32 v4, v186, v126
	v_add_f16_e32 v126, v206, v129
	;; [unrolled: 1-line block ×3, first 2 shown]
	v_mul_f16_e32 v95, 0x3b76, v139
	v_fmamk_f16 v211, v57, 0xb964, v97
	v_add_f16_e32 v108, v207, v108
	v_add_f16_e32 v12, v33, v29
	v_sub_f16_e32 v132, v44, v45
	v_mul_f16_e32 v21, 0xb836, v133
	v_mul_f16_e32 v116, 0xb461, v150
	;; [unrolled: 1-line block ×3, first 2 shown]
	v_fmamk_f16 v174, v13, 0xb8d2, v23
	v_fmamk_f16 v199, v59, 0x31e1, v118
	;; [unrolled: 1-line block ×3, first 2 shown]
	v_add_f16_e32 v161, v201, v183
	v_add_f16_e32 v2, v172, v2
	v_sub_f16_e32 v31, v33, v29
	v_add_f16_e32 v131, v44, v45
	v_mul_f16_e32 v64, 0xbacd, v138
	v_mul_f16_e32 v76, 0xb461, v139
	;; [unrolled: 1-line block ×4, first 2 shown]
	v_fmamk_f16 v173, v56, 0x3a62, v67
	v_fmamk_f16 v189, v57, 0xb836, v79
	;; [unrolled: 1-line block ×4, first 2 shown]
	v_add_f16_e32 v3, v187, v3
	v_add_f16_e32 v4, v188, v4
	;; [unrolled: 1-line block ×4, first 2 shown]
	v_mul_f16_e32 v93, 0x2de8, v138
	v_fmamk_f16 v213, v56, 0x35c8, v95
	v_add_f16_e32 v108, v211, v108
	v_add_f16_e32 v9, v49, v32
	v_mul_f16_e32 v20, 0xb1e1, v132
	v_mul_f16_e32 v117, 0xbb29, v135
	v_fmamk_f16 v177, v12, 0xbacd, v21
	v_fmamk_f16 v208, v22, 0xbbb2, v116
	v_add_f16_e32 v159, v199, v181
	v_add_f16_e32 v129, v209, v161
	v_fmamk_f16 v156, v16, 0x3b76, v119
	v_add_f16_e32 v2, v174, v2
	v_sub_f16_e32 v30, v49, v32
	v_mul_f16_e32 v63, 0xbbdd, v131
	v_mul_f16_e32 v73, 0x3722, v138
	;; [unrolled: 1-line block ×5, first 2 shown]
	v_fmamk_f16 v175, v31, 0x3836, v64
	v_fmamk_f16 v191, v56, 0xbbb2, v76
	;; [unrolled: 1-line block ×4, first 2 shown]
	v_add_f16_e32 v3, v189, v3
	v_add_f16_e32 v4, v190, v4
	v_add_f16_e32 v126, v212, v126
	v_add_f16_e32 v1, v173, v1
	v_mul_f16_e32 v92, 0xbacd, v131
	v_fmamk_f16 v215, v31, 0x3bf7, v93
	v_add_f16_e32 v108, v213, v108
	v_mul_f16_e32 v115, 0xb836, v134
	v_fmamk_f16 v178, v9, 0xbbdd, v20
	v_add_f16_e32 v128, v208, v159
	v_add_f16_e32 v129, v156, v129
	v_fmamk_f16 v159, v14, 0x3722, v117
	v_add_f16_e32 v2, v177, v2
	v_mul_f16_e32 v75, 0x35c8, v132
	v_mul_f16_e32 v72, 0x3b76, v131
	;; [unrolled: 1-line block ×4, first 2 shown]
	v_fmamk_f16 v180, v30, 0x31e1, v63
	v_fmamk_f16 v193, v31, 0xbb29, v73
	v_fmamk_f16 v202, v12, 0x3722, v78
	v_fmac_f16_e32 v198, v155, v160
	v_fmamk_f16 v155, v58, 0xb5c8, v114
	v_fmamk_f16 v157, v12, 0x2de8, v96
	v_add_f16_e32 v3, v191, v3
	v_add_f16_e32 v4, v192, v4
	v_add_f16_e32 v126, v214, v126
	v_add_f16_e32 v1, v175, v1
	v_fmamk_f16 v156, v30, 0x3836, v92
	v_add_f16_e32 v108, v215, v108
	v_mul_f16_e32 v113, 0x3a62, v133
	v_fmamk_f16 v161, v13, 0xbacd, v115
	v_add_f16_e32 v129, v159, v129
	v_add_f16_e32 v2, v178, v2
	v_mul_f16_e32 v110, 0xbacd, v139
	v_fmamk_f16 v203, v9, 0x3b76, v75
	v_fmamk_f16 v204, v30, 0xb5c8, v72
	v_fmac_f16_e32 v200, v158, v162
	v_add_f16_e32 v128, v155, v128
	v_fmamk_f16 v155, v9, 0xbacd, v94
	v_fmamk_f16 v158, v57, 0x3b29, v112
	v_add_f16_e32 v3, v193, v3
	v_add_f16_e32 v4, v202, v4
	;; [unrolled: 1-line block ×5, first 2 shown]
	v_add_nc_u32_e32 v156, 0x88, v35
	v_mul_f16_e32 v111, 0x3964, v132
	v_fmamk_f16 v162, v12, 0xb8d2, v113
	v_add_f16_e32 v129, v161, v129
	v_mul_f16_e32 v1, v2, v194
	v_mul_f16_e32 v109, 0xb8d2, v138
	v_fmamk_f16 v160, v56, 0x3836, v110
	v_add_f16_e32 v128, v158, v128
	v_add_f16_e32 v158, v203, v4
	;; [unrolled: 1-line block ×4, first 2 shown]
	v_mul_f16_e32 v155, v157, v194
	v_mul_lo_u32 v156, v17, v156
	v_fmac_f16_e32 v1, v157, v90
	v_add_f16_e32 v129, v162, v129
	v_fmamk_f16 v157, v9, 0x39e9, v111
	v_mul_f16_e32 v3, v158, v91
	v_mul_f16_e32 v91, v4, v91
	v_fma_f16 v2, v2, v90, -v155
	v_add_f16_e32 v90, v160, v128
	v_fmamk_f16 v155, v31, 0xba62, v109
	v_add_f16_e32 v129, v157, v129
	v_add_nc_u32_e32 v157, 0x66, v35
	v_fmac_f16_e32 v3, v4, v196
	v_mul_f16_e32 v4, v126, v198
	v_add_f16_e32 v155, v155, v90
	v_fma_f16 v90, v158, v196, -v91
	v_lshlrev_b32_sdwa v158, v36, v156 dst_sel:DWORD dst_unused:UNUSED_PAD src0_sel:DWORD src1_sel:BYTE_0
	v_add_nc_u32_e32 v91, 0x77, v35
	v_mul_f16_e32 v128, 0x39e9, v131
	v_mul_lo_u32 v181, v17, v157
	v_mul_f16_e32 v159, v108, v198
	v_fmac_f16_e32 v4, v108, v125
	v_lshlrev_b32_sdwa v108, v36, v156 dst_sel:DWORD dst_unused:UNUSED_PAD src0_sel:DWORD src1_sel:BYTE_1
	global_load_dword v175, v158, s[8:9]
	v_mul_lo_u32 v157, v17, v91
	v_fmamk_f16 v160, v30, 0xb964, v128
	v_bfe_u32 v156, v156, 16, 8
	global_load_dword v174, v108, s[8:9] offset:1024
	v_bfe_u32 v108, v181, 16, 8
	v_fma_f16 v91, v126, v125, -v159
	v_add_f16_e32 v125, v160, v155
	v_lshl_or_b32 v126, v156, 2, 0x800
	v_bfe_u32 v155, v157, 16, 8
	v_lshlrev_b32_sdwa v156, v36, v157 dst_sel:DWORD dst_unused:UNUSED_PAD src0_sel:DWORD src1_sel:BYTE_1
	v_lshlrev_b32_sdwa v158, v36, v181 dst_sel:DWORD dst_unused:UNUSED_PAD src0_sel:DWORD src1_sel:BYTE_0
	v_lshl_or_b32 v108, v108, 2, 0x800
	v_lshlrev_b32_sdwa v157, v36, v157 dst_sel:DWORD dst_unused:UNUSED_PAD src0_sel:DWORD src1_sel:BYTE_0
	v_lshl_or_b32 v155, v155, 2, 0x800
	s_clause 0x5
	global_load_dword v172, v156, s[8:9] offset:1024
	global_load_dword v170, v158, s[8:9]
	global_load_dword v161, v108, s[8:9]
	;; [unrolled: 1-line block ×5, first 2 shown]
	v_mul_f16_e32 v108, v129, v200
	v_mul_f16_e32 v155, 0xb461, v154
	;; [unrolled: 1-line block ×5, first 2 shown]
	v_fmac_f16_e32 v108, v125, v123
	v_fmamk_f16 v125, v65, 0x3bb2, v155
	v_fmamk_f16 v156, v66, 0xb461, v162
	v_mul_f16_e32 v169, 0x3836, v143
	v_fmamk_f16 v157, v59, 0xb836, v160
	v_mul_f16_e32 v159, 0x39e9, v150
	v_add_f16_sdwa v125, v125, v18 dst_sel:DWORD dst_unused:UNUSED_PAD src0_sel:DWORD src1_sel:WORD_1
	v_add_f16_e32 v156, v156, v18
	v_fmamk_f16 v163, v19, 0xbacd, v169
	v_mul_f16_e32 v168, 0x3964, v137
	v_mul_f16_e32 v158, 0x3722, v152
	v_add_f16_e32 v125, v157, v125
	v_fmamk_f16 v157, v22, 0xb964, v159
	v_add_f16_e32 v156, v163, v156
	v_fmamk_f16 v163, v15, 0x39e9, v168
	v_mul_f16_e32 v167, 0xbb29, v136
	v_fmamk_f16 v164, v58, 0x3b29, v158
	v_add_f16_e32 v125, v157, v125
	v_mul_f16_e32 v157, 0xbbdd, v144
	v_add_f16_e32 v163, v163, v156
	v_fmamk_f16 v165, v16, 0x3722, v167
	v_mul_f16_e32 v166, 0xb1e1, v135
	s_waitcnt vmcnt(16)
	v_lshrrev_b32_e32 v126, 16, v142
	v_mul_f16_sdwa v177, v142, v141 dst_sel:DWORD dst_unused:UNUSED_PAD src0_sel:DWORD src1_sel:WORD_1
	v_add_f16_e32 v125, v164, v125
	v_fmamk_f16 v164, v57, 0x31e1, v157
	v_add_f16_e32 v163, v165, v163
	v_fmamk_f16 v182, v14, 0xbbdd, v166
	v_mul_f16_e32 v165, 0x3bf7, v134
	v_fmac_f16_e32 v177, v126, v141
	v_mul_f16_sdwa v126, v126, v141 dst_sel:DWORD dst_unused:UNUSED_PAD src0_sel:DWORD src1_sel:WORD_1
	v_mul_f16_e32 v156, 0x2de8, v139
	v_add_f16_e32 v125, v164, v125
	v_add_f16_e32 v163, v182, v163
	v_fmamk_f16 v182, v13, 0x2de8, v165
	v_mul_f16_e32 v164, 0xb5c8, v133
	v_fma_f16 v126, v142, v141, -v126
	v_fmamk_f16 v141, v56, 0xbbf7, v156
	v_mul_f16_e32 v142, 0x3b76, v138
	v_add_f16_e32 v182, v182, v163
	v_fmamk_f16 v184, v12, 0x3b76, v164
	v_mul_f16_e32 v163, 0xba62, v132
	v_add_f16_e32 v125, v141, v125
	v_fmamk_f16 v185, v31, 0x35c8, v142
	v_mul_f16_e32 v141, 0xb8d2, v131
	v_mul_f16_sdwa v186, v126, v140 dst_sel:DWORD dst_unused:UNUSED_PAD src0_sel:DWORD src1_sel:WORD_1
	v_add_f16_e32 v182, v184, v182
	v_fmamk_f16 v184, v9, 0xb8d2, v163
	v_mul_f16_sdwa v183, v177, v140 dst_sel:DWORD dst_unused:UNUSED_PAD src0_sel:DWORD src1_sel:WORD_1
	v_add_f16_e32 v125, v185, v125
	v_fmamk_f16 v185, v30, 0x3a62, v141
	v_fma_f16 v123, v129, v123, -v178
	v_fmac_f16_e32 v186, v140, v177
	v_add_f16_e32 v129, v184, v182
	v_fma_f16 v126, v140, v126, -v183
	v_add_f16_e32 v140, v185, v125
	s_waitcnt vmcnt(15)
	v_lshrrev_b32_e32 v178, 16, v176
	s_waitcnt vmcnt(14)
	v_mul_f16_sdwa v185, v176, v179 dst_sel:DWORD dst_unused:UNUSED_PAD src0_sel:DWORD src1_sel:WORD_1
	v_mul_f16_e32 v125, v129, v186
	v_mul_f16_e32 v177, 0xb8d2, v154
	;; [unrolled: 1-line block ×3, first 2 shown]
	v_mul_f16_sdwa v183, v178, v179 dst_sel:DWORD dst_unused:UNUSED_PAD src0_sel:DWORD src1_sel:WORD_1
	v_fmac_f16_e32 v185, v178, v179
	v_fmac_f16_e32 v125, v140, v126
	v_fmamk_f16 v140, v65, 0x3a62, v177
	v_mul_f16_e32 v178, 0xb461, v153
	v_mul_f16_e32 v184, 0xba62, v151
	v_fma_f16 v176, v176, v179, -v183
	v_mul_f16_sdwa v183, v185, v130 dst_sel:DWORD dst_unused:UNUSED_PAD src0_sel:DWORD src1_sel:WORD_1
	v_fma_f16 v126, v129, v126, -v182
	v_add_f16_sdwa v129, v140, v18 dst_sel:DWORD dst_unused:UNUSED_PAD src0_sel:DWORD src1_sel:WORD_1
	v_fmamk_f16 v182, v59, 0xbbb2, v178
	v_fmamk_f16 v186, v66, 0xb8d2, v184
	v_mul_f16_e32 v191, 0x3bb2, v143
	v_mul_f16_e32 v179, 0x3b76, v150
	v_fma_f16 v201, v130, v176, -v183
	v_mul_f16_sdwa v140, v176, v130 dst_sel:DWORD dst_unused:UNUSED_PAD src0_sel:DWORD src1_sel:WORD_1
	v_add_f16_e32 v129, v182, v129
	v_add_f16_e32 v176, v186, v18
	v_fmamk_f16 v182, v19, 0xb461, v191
	v_mul_f16_e32 v186, 0xb5c8, v137
	v_lshlrev_b32_sdwa v183, v36, v181 dst_sel:DWORD dst_unused:UNUSED_PAD src0_sel:DWORD src1_sel:BYTE_1
	v_fmamk_f16 v187, v22, 0x35c8, v179
	v_mul_f16_e32 v181, 0xbacd, v152
	v_add_f16_e32 v182, v182, v176
	v_fmamk_f16 v188, v15, 0x3b76, v186
	v_mul_f16_e32 v190, 0xb836, v136
	global_load_dword v176, v183, s[8:9] offset:1024
	v_add_f16_e32 v129, v187, v129
	v_fmamk_f16 v187, v58, 0x3836, v181
	v_mul_f16_e32 v183, 0x2de8, v144
	v_add_f16_e32 v188, v188, v182
	v_fmamk_f16 v192, v16, 0xbacd, v190
	v_mul_f16_e32 v189, 0x3bf7, v135
	;; [unrolled: 3-line block ×4, first 2 shown]
	v_fmac_f16_e32 v140, v130, v185
	v_add_f16_e32 v129, v187, v129
	v_fmamk_f16 v130, v56, 0x3964, v182
	v_add_f16_e32 v192, v193, v192
	v_fmamk_f16 v193, v13, 0x39e9, v188
	v_mul_f16_e32 v187, 0xb1e1, v133
	v_add_nc_u32_e32 v194, 0x55, v35
	v_add_f16_e32 v129, v130, v129
	v_mul_f16_e32 v185, 0xbbdd, v138
	v_add_f16_e32 v130, v193, v192
	v_fmamk_f16 v193, v12, 0xbbdd, v187
	v_mul_lo_u32 v195, v17, v194
	v_add_nc_u32_e32 v197, 51, v35
	v_fmamk_f16 v196, v31, 0x31e1, v185
	v_mul_f16_e32 v192, 0x3b29, v132
	v_add_f16_e32 v130, v193, v130
	v_add_nc_u32_e32 v193, 0x44, v35
	v_mul_lo_u32 v202, v17, v197
	v_add_f16_e32 v129, v196, v129
	v_lshlrev_b32_sdwa v197, v36, v195 dst_sel:DWORD dst_unused:UNUSED_PAD src0_sel:DWORD src1_sel:BYTE_0
	v_lshlrev_b32_sdwa v196, v36, v195 dst_sel:DWORD dst_unused:UNUSED_PAD src0_sel:DWORD src1_sel:BYTE_1
	v_mul_lo_u32 v199, v17, v193
	v_fmamk_f16 v198, v9, 0x3722, v192
	v_bfe_u32 v195, v195, 16, 8
	s_clause 0x1
	global_load_dword v193, v197, s[8:9]
	global_load_dword v196, v196, s[8:9] offset:1024
	v_bfe_u32 v197, v202, 16, 8
	v_add_f16_e32 v130, v198, v130
	v_lshl_or_b32 v205, v195, 2, 0x800
	v_bfe_u32 v198, v199, 16, 8
	v_lshlrev_b32_sdwa v200, v36, v199 dst_sel:DWORD dst_unused:UNUSED_PAD src0_sel:DWORD src1_sel:BYTE_1
	v_lshl_or_b32 v197, v197, 2, 0x800
	v_lshlrev_b32_sdwa v199, v36, v199 dst_sel:DWORD dst_unused:UNUSED_PAD src0_sel:DWORD src1_sel:BYTE_0
	v_mul_f16_e32 v207, 0xb836, v151
	v_lshl_or_b32 v204, v198, 2, 0x800
	s_clause 0x4
	global_load_dword v198, v200, s[8:9] offset:1024
	global_load_dword v195, v197, s[8:9]
	global_load_dword v199, v199, s[8:9]
	;; [unrolled: 1-line block ×4, first 2 shown]
	v_mul_f16_e32 v204, 0xbacd, v154
	v_mul_f16_e32 v209, 0x3722, v153
	v_fmamk_f16 v210, v66, 0xbacd, v207
	v_mul_f16_e32 v211, 0x3b29, v143
	v_mul_f16_e32 v213, 0x2de8, v150
	v_fmamk_f16 v208, v65, 0x3836, v204
	v_fmamk_f16 v212, v59, 0xbb29, v209
	v_add_f16_e32 v210, v210, v18
	v_fmamk_f16 v214, v19, 0x3722, v211
	v_mul_f16_e32 v215, 0xbbf7, v137
	v_add_f16_sdwa v208, v208, v18 dst_sel:DWORD dst_unused:UNUSED_PAD src0_sel:DWORD src1_sel:WORD_1
	v_mul_f16_e32 v216, 0xb8d2, v152
	v_mul_f16_e32 v217, 0x3a62, v136
	v_add_f16_e32 v210, v214, v210
	v_fmamk_f16 v214, v15, 0x2de8, v215
	v_add_f16_e32 v208, v212, v208
	v_fmamk_f16 v212, v22, 0x3bf7, v213
	v_mul_f16_e32 v218, 0x3b76, v144
	v_mul_f16_e32 v219, 0xb5c8, v135
	v_add_f16_e32 v210, v214, v210
	v_fmamk_f16 v214, v16, 0xb8d2, v217
	v_add_f16_e32 v208, v212, v208
	v_fmamk_f16 v212, v58, 0xba62, v216
	s_waitcnt vmcnt(17)
	v_lshrrev_b32_e32 v205, 16, v149
	v_mul_f16_sdwa v206, v149, v148 dst_sel:DWORD dst_unused:UNUSED_PAD src0_sel:DWORD src1_sel:WORD_1
	v_mul_f16_e32 v220, 0xbbdd, v139
	v_add_f16_e32 v210, v214, v210
	v_add_f16_e32 v208, v212, v208
	v_fmamk_f16 v212, v57, 0x35c8, v218
	v_fmamk_f16 v214, v14, 0x3b76, v219
	v_mul_f16_e32 v221, 0xb1e1, v134
	v_fmac_f16_e32 v206, v205, v148
	v_mul_f16_sdwa v205, v205, v148 dst_sel:DWORD dst_unused:UNUSED_PAD src0_sel:DWORD src1_sel:WORD_1
	v_add_f16_e32 v208, v212, v208
	v_fmamk_f16 v212, v56, 0x31e1, v220
	v_add_f16_e32 v210, v214, v210
	v_fmamk_f16 v214, v13, 0xbbdd, v221
	v_mul_f16_e32 v222, 0x3964, v133
	v_mul_f16_e32 v194, 0x3722, v131
	v_fma_f16 v148, v149, v148, -v205
	v_mul_f16_e32 v149, 0x39e9, v138
	v_add_f16_e32 v205, v212, v208
	v_add_f16_e32 v208, v214, v210
	v_fmamk_f16 v210, v12, 0x39e9, v222
	v_mul_f16_e32 v212, 0xbbb2, v132
	v_fmamk_f16 v203, v30, 0xbb29, v194
	v_fmamk_f16 v214, v31, 0xb964, v149
	v_mul_f16_e32 v223, 0xb461, v131
	s_waitcnt vmcnt(16)
	v_mul_f16_sdwa v224, v148, v147 dst_sel:DWORD dst_unused:UNUSED_PAD src0_sel:DWORD src1_sel:WORD_1
	v_add_f16_e32 v208, v210, v208
	v_fmamk_f16 v210, v9, 0xb461, v212
	v_add_f16_e32 v203, v203, v129
	v_mul_f16_e32 v129, v130, v140
	v_mul_f16_sdwa v225, v206, v147 dst_sel:DWORD dst_unused:UNUSED_PAD src0_sel:DWORD src1_sel:WORD_1
	v_mul_f16_e32 v154, 0xbbdd, v154
	v_add_f16_e32 v205, v214, v205
	v_fmamk_f16 v214, v30, 0x3bb2, v223
	v_fmac_f16_e32 v224, v147, v206
	v_add_f16_e32 v206, v210, v208
	v_mul_f16_e32 v208, v203, v140
	v_fmac_f16_e32 v129, v203, v201
	v_fma_f16 v203, v147, v148, -v225
	v_lshlrev_b32_sdwa v147, v36, v202 dst_sel:DWORD dst_unused:UNUSED_PAD src0_sel:DWORD src1_sel:BYTE_0
	v_fmamk_f16 v148, v65, 0x31e1, v154
	v_lshlrev_b32_sdwa v202, v36, v202 dst_sel:DWORD dst_unused:UNUSED_PAD src0_sel:DWORD src1_sel:BYTE_1
	v_add_f16_e32 v205, v214, v205
	v_mul_f16_e32 v140, v206, v224
	global_load_dword v147, v147, s[8:9]
	v_add_f16_sdwa v214, v148, v18 dst_sel:DWORD dst_unused:UNUSED_PAD src0_sel:DWORD src1_sel:WORD_1
	global_load_dword v148, v202, s[8:9] offset:1024
	v_add_nc_u32_e32 v202, 34, v35
	v_fma_f16 v130, v130, v201, -v208
	v_mul_f16_e32 v201, v205, v224
	v_fmac_f16_e32 v140, v205, v203
	v_lshrrev_b32_e32 v205, 16, v146
	v_mul_f16_e32 v153, 0x3b76, v153
	v_mul_lo_u32 v202, v17, v202
	v_mul_f16_sdwa v208, v146, v145 dst_sel:DWORD dst_unused:UNUSED_PAD src0_sel:DWORD src1_sel:WORD_1
	v_mul_f16_e32 v151, 0xb1e1, v151
	v_mul_f16_sdwa v210, v205, v145 dst_sel:DWORD dst_unused:UNUSED_PAD src0_sel:DWORD src1_sel:WORD_1
	v_fmamk_f16 v224, v59, 0xb5c8, v153
	v_mul_f16_e32 v150, 0xbacd, v150
	v_fmac_f16_e32 v208, v205, v145
	v_mul_f16_e32 v228, 0x35c8, v143
	v_fma_f16 v145, v146, v145, -v210
	v_add_f16_e32 v146, v224, v214
	v_fmamk_f16 v224, v66, 0xbbdd, v151
	v_lshlrev_b32_sdwa v225, v36, v202 dst_sel:DWORD dst_unused:UNUSED_PAD src0_sel:DWORD src1_sel:BYTE_0
	v_lshlrev_b32_sdwa v226, v36, v202 dst_sel:DWORD dst_unused:UNUSED_PAD src0_sel:DWORD src1_sel:BYTE_1
	v_fmamk_f16 v205, v22, 0x3836, v150
	v_mul_f16_e32 v152, 0x39e9, v152
	v_mul_f16_e32 v227, 0xb8d2, v144
	v_add_f16_e32 v224, v224, v18
	s_clause 0x1
	global_load_dword v143, v225, s[8:9]
	global_load_dword v144, v226, s[8:9] offset:1024
	v_fmamk_f16 v226, v19, 0x3b76, v228
	v_mul_f16_e32 v137, 0xb836, v137
	v_add_f16_e32 v146, v205, v146
	v_fmamk_f16 v205, v58, 0xb964, v152
	v_mul_f16_e32 v136, 0x3964, v136
	v_add_f16_e32 v224, v226, v224
	;; [unrolled: 3-line block ×6, first 2 shown]
	v_fmamk_f16 v226, v14, 0xb8d2, v135
	v_mul_f16_sdwa v214, v208, v127 dst_sel:DWORD dst_unused:UNUSED_PAD src0_sel:DWORD src1_sel:WORD_1
	v_mul_f16_sdwa v230, v145, v127 dst_sel:DWORD dst_unused:UNUSED_PAD src0_sel:DWORD src1_sel:WORD_1
	v_add_f16_e32 v146, v205, v146
	v_fmamk_f16 v205, v31, 0x3bb2, v138
	v_add_f16_e32 v224, v226, v224
	v_fmamk_f16 v226, v13, 0x3722, v134
	v_mul_f16_e32 v133, 0xbbb2, v133
	v_fma_f16 v145, v127, v145, -v214
	v_fmac_f16_e32 v230, v127, v208
	v_add_f16_e32 v127, v205, v146
	v_add_f16_e32 v146, v226, v224
	v_fma_f16 v151, v66, 0xbbdd, -v151
	v_fmamk_f16 v205, v12, 0xb461, v133
	v_mul_f16_e32 v132, 0x3bf7, v132
	v_fmac_f16_e32 v154, 0xb1e1, v65
	v_fma_f16 v208, v19, 0x3b76, -v228
	v_add_f16_e32 v151, v151, v18
	v_add_f16_e32 v146, v205, v146
	v_fmamk_f16 v205, v9, 0x2de8, v132
	v_fmac_f16_e32 v153, 0x35c8, v59
	v_add_f16_sdwa v154, v154, v18 dst_sel:DWORD dst_unused:UNUSED_PAD src0_sel:DWORD src1_sel:WORD_1
	v_add_f16_e32 v151, v208, v151
	v_fma_f16 v137, v15, 0xbacd, -v137
	v_add_f16_e32 v146, v205, v146
	v_mul_f16_e32 v205, 0x2de8, v131
	v_add_f16_e32 v131, v153, v154
	v_fmac_f16_e32 v150, 0xb836, v22
	v_add_f16_e32 v137, v137, v151
	v_fma_f16 v136, v16, 0x39e9, -v136
	v_fmamk_f16 v151, v30, 0xbbf7, v205
	v_fmac_f16_e32 v152, 0x3964, v58
	v_add_f16_e32 v131, v150, v131
	v_add_nc_u32_e32 v210, 17, v35
	v_add_f16_e32 v136, v136, v137
	v_fma_f16 v135, v14, 0xb8d2, -v135
	v_add_f16_e32 v137, v151, v127
	v_add_f16_e32 v131, v152, v131
	v_fmac_f16_e32 v227, 0xba62, v57
	v_mul_lo_u32 v210, v17, v210
	v_add_f16_e32 v135, v135, v136
	v_fma_f16 v134, v13, 0x3722, -v134
	v_fmac_f16_e32 v139, 0x3b29, v56
	v_add_f16_e32 v131, v227, v131
	v_fma_f16 v133, v12, 0xb461, -v133
	v_fmac_f16_e32 v138, 0xbbb2, v31
	v_add_f16_e32 v134, v134, v135
	v_bfe_u32 v225, v210, 16, 8
	v_add_f16_e32 v131, v139, v131
	v_bfe_u32 v202, v202, 16, 8
	s_waitcnt vmcnt(19)
	v_lshrrev_b32_e32 v153, 16, v175
	v_add_f16_e32 v133, v133, v134
	v_fma_f16 v132, v9, 0x2de8, -v132
	v_fmac_f16_e32 v205, 0x3bf7, v30
	s_waitcnt vmcnt(18)
	v_mul_f16_sdwa v136, v175, v174 dst_sel:DWORD dst_unused:UNUSED_PAD src0_sel:DWORD src1_sel:WORD_1
	v_mul_f16_sdwa v127, v153, v174 dst_sel:DWORD dst_unused:UNUSED_PAD src0_sel:DWORD src1_sel:WORD_1
	v_lshlrev_b32_sdwa v229, v36, v210 dst_sel:DWORD dst_unused:UNUSED_PAD src0_sel:DWORD src1_sel:BYTE_1
	v_lshlrev_b32_sdwa v210, v36, v210 dst_sel:DWORD dst_unused:UNUSED_PAD src0_sel:DWORD src1_sel:BYTE_0
	v_lshl_or_b32 v225, v225, 2, 0x800
	v_fmac_f16_e32 v136, v153, v174
	v_fma_f16 v127, v175, v174, -v127
	v_lshl_or_b32 v202, v202, 2, 0x800
	s_clause 0x3
	global_load_dword v229, v229, s[8:9] offset:1024
	global_load_dword v210, v210, s[8:9]
	global_load_dword v225, v225, s[8:9]
	;; [unrolled: 1-line block ×3, first 2 shown]
	v_mul_lo_u32 v17, v17, v35
	s_waitcnt vmcnt(16)
	v_mul_f16_sdwa v135, v127, v180 dst_sel:DWORD dst_unused:UNUSED_PAD src0_sel:DWORD src1_sel:WORD_1
	v_mul_f16_sdwa v134, v136, v180 dst_sel:DWORD dst_unused:UNUSED_PAD src0_sel:DWORD src1_sel:WORD_1
	v_fmac_f16_e32 v204, 0xb836, v65
	v_fmac_f16_e32 v209, 0x3b29, v59
	v_mul_f16_sdwa v139, v173, v172 dst_sel:DWORD dst_unused:UNUSED_PAD src0_sel:DWORD src1_sel:WORD_1
	v_fmac_f16_e32 v135, v180, v136
	v_add_f16_e32 v136, v138, v131
	v_add_f16_e32 v138, v132, v133
	v_mul_f16_e32 v131, v146, v230
	v_mul_f16_e32 v132, v137, v230
	v_fma_f16 v134, v180, v127, -v134
	v_add_f16_e32 v136, v205, v136
	v_mul_f16_e32 v133, v138, v135
	v_fmac_f16_e32 v131, v137, v145
	v_fma_f16 v137, v66, 0xbacd, -v207
	v_fma_f16 v132, v146, v145, -v132
	v_mul_f16_e32 v135, v136, v135
	v_fmac_f16_e32 v133, v136, v134
	v_lshlrev_b32_sdwa v146, v36, v17 dst_sel:DWORD dst_unused:UNUSED_PAD src0_sel:DWORD src1_sel:BYTE_0
	v_add_f16_e32 v137, v137, v18
	v_lshlrev_b32_sdwa v36, v36, v17 dst_sel:DWORD dst_unused:UNUSED_PAD src0_sel:DWORD src1_sel:BYTE_1
	v_fma_f16 v134, v138, v134, -v135
	v_fma_f16 v135, v19, 0x3722, -v211
	global_load_dword v146, v146, s[8:9]
	v_bfe_u32 v17, v17, 16, 8
	global_load_dword v150, v36, s[8:9] offset:1024
	v_add_f16_sdwa v138, v204, v18 dst_sel:DWORD dst_unused:UNUSED_PAD src0_sel:DWORD src1_sel:WORD_1
	v_add_f16_e32 v135, v135, v137
	v_fma_f16 v137, v15, 0x2de8, -v215
	v_lshl_or_b32 v17, v17, 2, 0x800
	v_lshrrev_b32_e32 v136, 16, v173
	v_add_f16_e32 v138, v209, v138
	v_fmac_f16_e32 v213, 0xbbf7, v22
	v_add_f16_e32 v135, v137, v135
	v_fma_f16 v137, v16, 0xb8d2, -v217
	v_fmac_f16_e32 v139, v136, v172
	v_mul_f16_sdwa v136, v136, v172 dst_sel:DWORD dst_unused:UNUSED_PAD src0_sel:DWORD src1_sel:WORD_1
	v_add_f16_e32 v138, v213, v138
	v_fmac_f16_e32 v216, 0x3a62, v58
	v_add_f16_e32 v135, v137, v135
	v_fma_f16 v137, v14, 0x3b76, -v219
	v_fma_f16 v136, v173, v172, -v136
	v_fmac_f16_e32 v218, 0xb5c8, v57
	v_fmac_f16_e32 v220, 0xb1e1, v56
	v_mul_f16_sdwa v145, v139, v171 dst_sel:DWORD dst_unused:UNUSED_PAD src0_sel:DWORD src1_sel:WORD_1
	v_add_f16_e32 v135, v137, v135
	v_fma_f16 v137, v13, 0xbbdd, -v221
	v_fmac_f16_e32 v149, 0x3964, v31
	v_fmac_f16_e32 v177, 0xba62, v65
	;; [unrolled: 1-line block ×4, first 2 shown]
	v_add_f16_e32 v135, v137, v135
	global_load_dword v137, v17, s[8:9]
	v_add_f16_e32 v36, v216, v138
	v_mul_f16_sdwa v138, v136, v171 dst_sel:DWORD dst_unused:UNUSED_PAD src0_sel:DWORD src1_sel:WORD_1
	v_fma_f16 v17, v12, 0x39e9, -v222
	v_fma_f16 v136, v171, v136, -v145
	v_add_f16_sdwa v145, v177, v18 dst_sel:DWORD dst_unused:UNUSED_PAD src0_sel:DWORD src1_sel:WORD_1
	v_add_f16_e32 v36, v218, v36
	v_fmac_f16_e32 v138, v171, v139
	v_fma_f16 v139, v66, 0xb8d2, -v184
	v_add_f16_e32 v17, v17, v135
	v_fma_f16 v135, v9, 0xb461, -v212
	v_add_f16_e32 v36, v220, v36
	v_add_f16_e32 v145, v178, v145
	;; [unrolled: 1-line block ×3, first 2 shown]
	v_fmac_f16_e32 v179, 0xb5c8, v22
	v_add_f16_e32 v135, v135, v17
	v_add_f16_e32 v36, v149, v36
	v_fma_f16 v149, v19, 0xb461, -v191
	v_fmac_f16_e32 v181, 0xb836, v58
	v_add_f16_e32 v145, v179, v145
	v_mul_f16_e32 v17, v135, v138
	v_add_f16_e32 v36, v223, v36
	v_add_f16_e32 v139, v149, v139
	v_fma_f16 v149, v15, 0x3b76, -v186
	v_add_f16_e32 v145, v181, v145
	v_fmac_f16_e32 v183, 0x3bf7, v57
	v_mul_f16_e32 v138, v36, v138
	v_fmac_f16_e32 v17, v36, v136
	v_add_f16_e32 v139, v149, v139
	v_fma_f16 v149, v16, 0xbacd, -v190
	v_lshrrev_b32_e32 v36, 16, v170
	v_fmac_f16_e32 v155, 0xbbb2, v65
	v_fma_f16 v124, v66, 0x2de8, -v124
	v_fmac_f16_e32 v120, 0xbbf7, v65
	v_add_f16_e32 v139, v149, v139
	v_fma_f16 v149, v14, 0x2de8, -v189
	v_fma_f16 v107, v66, 0x3722, -v107
	v_fmac_f16_e32 v104, 0xbb29, v65
	v_fma_f16 v89, v66, 0x39e9, -v89
	v_fmac_f16_e32 v87, 0xb964, v65
	v_add_f16_e32 v139, v149, v139
	s_waitcnt vmcnt(18)
	v_mul_f16_sdwa v151, v170, v176 dst_sel:DWORD dst_unused:UNUSED_PAD src0_sel:DWORD src1_sel:WORD_1
	v_fma_f16 v149, v13, 0x39e9, -v188
	v_mul_f16_sdwa v152, v36, v176 dst_sel:DWORD dst_unused:UNUSED_PAD src0_sel:DWORD src1_sel:WORD_1
	v_fmac_f16_e32 v74, 0xb5c8, v65
	v_add_f16_e32 v145, v183, v145
	v_fmac_f16_e32 v151, v36, v176
	v_add_f16_e32 v139, v149, v139
	v_fma_f16 v149, v12, 0xbbdd, -v187
	v_fma_f16 v152, v170, v176, -v152
	;; [unrolled: 1-line block ×3, first 2 shown]
	v_mul_f16_sdwa v135, v151, v161 dst_sel:DWORD dst_unused:UNUSED_PAD src0_sel:DWORD src1_sel:WORD_1
	v_fmac_f16_e32 v182, 0xb964, v56
	v_add_f16_e32 v139, v149, v139
	v_fma_f16 v149, v66, 0xb461, -v162
	v_fma_f16 v66, v66, 0x3b76, -v77
	v_mul_f16_sdwa v138, v152, v161 dst_sel:DWORD dst_unused:UNUSED_PAD src0_sel:DWORD src1_sel:WORD_1
	v_fma_f16 v135, v161, v152, -v135
	v_add_f16_sdwa v152, v155, v18 dst_sel:DWORD dst_unused:UNUSED_PAD src0_sel:DWORD src1_sel:WORD_1
	v_add_f16_e32 v149, v149, v18
	v_add_f16_e32 v124, v124, v18
	v_add_f16_sdwa v120, v120, v18 dst_sel:DWORD dst_unused:UNUSED_PAD src0_sel:DWORD src1_sel:WORD_1
	v_add_f16_e32 v107, v107, v18
	v_add_f16_sdwa v104, v104, v18 dst_sel:DWORD dst_unused:UNUSED_PAD src0_sel:DWORD src1_sel:WORD_1
	;; [unrolled: 2-line block ×3, first 2 shown]
	v_add_f16_sdwa v74, v74, v18 dst_sel:DWORD dst_unused:UNUSED_PAD src0_sel:DWORD src1_sel:WORD_1
	v_add_f16_e32 v66, v66, v18
	v_add_f16_sdwa v55, v55, v18 dst_sel:DWORD dst_unused:UNUSED_PAD src0_sel:DWORD src1_sel:WORD_1
	v_add_f16_e32 v18, v26, v18
	v_add_f16_e32 v145, v182, v145
	v_fmac_f16_e32 v185, 0xb1e1, v31
	v_fmac_f16_e32 v194, 0x3b29, v30
	;; [unrolled: 1-line block ×3, first 2 shown]
	v_add_f16_e32 v10, v18, v10
	v_add_f16_e32 v54, v55, v54
	;; [unrolled: 1-line block ×3, first 2 shown]
	v_fma_f16 v145, v9, 0x3722, -v192
	v_fmac_f16_e32 v138, v161, v151
	v_add_f16_e32 v10, v10, v11
	v_fmac_f16_e32 v159, 0x3964, v22
	v_add_f16_e32 v136, v194, v136
	v_add_f16_e32 v139, v145, v139
	v_fma_f16 v145, v19, 0xbacd, -v169
	v_fmac_f16_e32 v116, 0x3bb2, v22
	v_fmac_f16_e32 v101, 0x31e1, v22
	v_fma_f16 v88, v19, 0x2de8, -v88
	v_fmac_f16_e32 v83, 0xba62, v22
	v_fmac_f16_e32 v69, 0xbb29, v22
	v_add_f16_e32 v22, v71, v74
	v_add_f16_e32 v18, v54, v52
	v_fma_f16 v11, v19, 0x39e9, -v62
	v_add_f16_e32 v10, v10, v24
	v_mul_f16_e32 v151, v139, v138
	v_mul_f16_e32 v138, v136, v138
	v_add_f16_e32 v145, v145, v149
	v_fma_f16 v149, v15, 0x39e9, -v168
	v_fma_f16 v121, v15, 0xb461, -v121
	;; [unrolled: 1-line block ×3, first 2 shown]
	v_add_f16_e32 v65, v88, v89
	v_fma_f16 v86, v15, 0xb8d2, -v86
	v_fmac_f16_e32 v70, 0xbbf7, v58
	v_add_f16_e32 v22, v69, v22
	v_add_f16_e32 v18, v18, v50
	v_fma_f16 v15, v15, 0x3722, -v61
	v_add_f16_e32 v11, v11, v66
	v_add_f16_e32 v10, v10, v53
	v_fmac_f16_e32 v151, v136, v135
	v_fma_f16 v135, v139, v135, -v138
	v_add_f16_e32 v138, v149, v145
	v_fma_f16 v139, v16, 0x3722, -v167
	v_fma_f16 v119, v16, 0x3b76, -v119
	v_fma_f16 v103, v16, 0xb461, -v103
	v_add_f16_e32 v65, v86, v65
	v_fma_f16 v77, v16, 0xbbdd, -v85
	v_fmac_f16_e32 v68, 0xbbb2, v57
	v_add_f16_e32 v22, v70, v22
	v_add_f16_e32 v18, v18, v48
	v_fma_f16 v16, v16, 0x2de8, -v60
	v_add_f16_e32 v11, v15, v11
	v_add_f16_e32 v10, v10, v51
	;; [unrolled: 1-line block ×3, first 2 shown]
	v_fma_f16 v139, v14, 0xbbdd, -v166
	v_fma_f16 v117, v14, 0x3722, -v117
	v_fma_f16 v100, v14, 0x39e9, -v100
	v_add_f16_e32 v65, v77, v65
	v_fma_f16 v77, v14, 0xbacd, -v82
	v_fmac_f16_e32 v67, 0xba62, v56
	v_add_f16_e32 v22, v68, v22
	v_add_f16_e32 v15, v18, v47
	v_fma_f16 v14, v14, 0xb461, -v27
	v_add_f16_e32 v11, v16, v11
	v_add_f16_e32 v10, v10, v33
	v_fmac_f16_e32 v160, 0x3836, v59
	v_add_f16_e32 v138, v139, v138
	v_fma_f16 v139, v13, 0x2de8, -v165
	v_fmac_f16_e32 v118, 0xb1e1, v59
	v_fma_f16 v115, v13, 0xbacd, -v115
	v_fmac_f16_e32 v102, 0xba62, v59
	;; [unrolled: 2-line block ×3, first 2 shown]
	v_add_f16_e32 v26, v77, v65
	v_fma_f16 v59, v13, 0xb461, -v80
	v_fmac_f16_e32 v64, 0xb836, v31
	v_add_f16_e32 v22, v67, v22
	v_add_f16_e32 v15, v15, v46
	v_fma_f16 v13, v13, 0xb8d2, -v23
	v_add_f16_e32 v11, v14, v11
	v_add_f16_e32 v10, v10, v49
	;; [unrolled: 1-line block ×3, first 2 shown]
	v_fma_f16 v139, v12, 0x3b76, -v164
	v_fma_f16 v122, v19, 0xbbdd, -v122
	;; [unrolled: 1-line block ×5, first 2 shown]
	v_add_f16_e32 v26, v59, v26
	v_fma_f16 v59, v12, 0x3722, -v78
	v_add_f16_e32 v19, v64, v22
	v_add_f16_e32 v14, v15, v44
	v_fma_f16 v12, v12, 0xbacd, -v21
	v_add_f16_e32 v11, v13, v11
	v_add_f16_e32 v10, v10, v32
	v_fmac_f16_e32 v158, 0xbb29, v58
	v_add_f16_e32 v138, v139, v138
	v_fma_f16 v139, v9, 0xb8d2, -v163
	v_fmac_f16_e32 v114, 0x35c8, v58
	v_fma_f16 v111, v9, 0x39e9, -v111
	v_fmac_f16_e32 v99, 0x3bb2, v58
	;; [unrolled: 2-line block ×3, first 2 shown]
	v_fma_f16 v58, v9, 0x3b76, -v75
	v_add_f16_e32 v13, v14, v45
	v_fma_f16 v9, v9, 0xbbdd, -v20
	v_add_f16_e32 v11, v12, v11
	v_add_f16_e32 v10, v10, v29
	;; [unrolled: 1-line block ×5, first 2 shown]
	v_fmac_f16_e32 v63, 0xb1e1, v30
	v_add_f16_e32 v10, v10, v28
	v_add_f16_e32 v105, v105, v106
	s_waitcnt vmcnt(10)
	v_lshrrev_b32_e32 v107, 16, v147
	v_add_f16_e32 v101, v101, v102
	v_fmac_f16_e32 v97, 0x3964, v57
	v_add_f16_e32 v10, v10, v25
	v_add_f16_e32 v103, v103, v105
	;; [unrolled: 1-line block ×4, first 2 shown]
	s_waitcnt vmcnt(9)
	v_mul_f16_sdwa v102, v107, v148 dst_sel:DWORD dst_unused:UNUSED_PAD src0_sel:DWORD src1_sel:WORD_1
	v_add_f16_e32 v6, v10, v6
	v_add_f16_e32 v100, v100, v103
	v_fmac_f16_e32 v95, 0xb5c8, v56
	v_add_f16_e32 v97, v97, v99
	v_add_f16_e32 v84, v84, v87
	;; [unrolled: 1-line block ×3, first 2 shown]
	v_mul_f16_sdwa v101, v147, v148 dst_sel:DWORD dst_unused:UNUSED_PAD src0_sel:DWORD src1_sel:WORD_1
	v_fma_f16 v102, v147, v148, -v102
	v_add_f16_e32 v98, v98, v100
	v_add_f16_e32 v95, v95, v97
	;; [unrolled: 1-line block ×3, first 2 shown]
	v_mad_u64_u32 v[6:7], null, s2, v34, 0
	v_fmac_f16_e32 v93, 0xbbf7, v31
	v_add_f16_e32 v83, v83, v84
	v_add_f16_e32 v20, v20, v5
	v_fmac_f16_e32 v101, v107, v148
	v_mul_f16_sdwa v99, v102, v195 dst_sel:DWORD dst_unused:UNUSED_PAD src0_sel:DWORD src1_sel:WORD_1
	v_add_f16_e32 v96, v96, v98
	v_add_f16_e32 v93, v93, v95
	v_fmac_f16_e32 v92, 0xb836, v30
	s_waitcnt vmcnt(8)
	v_lshrrev_b32_e32 v95, 16, v143
	s_waitcnt vmcnt(7)
	v_mul_f16_sdwa v98, v143, v144 dst_sel:DWORD dst_unused:UNUSED_PAD src0_sel:DWORD src1_sel:WORD_1
	v_add_f16_e32 v81, v81, v83
	v_fmac_f16_e32 v79, 0x3836, v57
	v_mul_f16_sdwa v97, v101, v195 dst_sel:DWORD dst_unused:UNUSED_PAD src0_sel:DWORD src1_sel:WORD_1
	v_fmac_f16_e32 v99, v195, v101
	v_add_f16_e32 v94, v94, v96
	v_add_f16_e32 v92, v92, v93
	v_mul_f16_sdwa v93, v95, v144 dst_sel:DWORD dst_unused:UNUSED_PAD src0_sel:DWORD src1_sel:WORD_1
	v_fmac_f16_e32 v98, v95, v144
	v_add_f16_e32 v65, v79, v81
	v_fmac_f16_e32 v76, 0x3bb2, v56
	v_fma_f16 v96, v195, v102, -v97
	v_mul_f16_e32 v95, v94, v99
	v_mul_f16_e32 v99, v92, v99
	v_fma_f16 v93, v143, v144, -v93
	v_add_f16_e32 v65, v76, v65
	v_fmac_f16_e32 v73, 0x3b29, v31
	v_add_f16_e32 v122, v122, v124
	v_add_f16_e32 v118, v118, v120
	v_fmac_f16_e32 v157, 0xb1e1, v57
	v_fmac_f16_e32 v112, 0xbb29, v57
	;; [unrolled: 1-line block ×3, first 2 shown]
	v_fma_f16 v92, v94, v96, -v99
	v_add_f16_e32 v26, v59, v26
	v_add_f16_e32 v57, v73, v65
	v_fmac_f16_e32 v72, 0x35c8, v30
	v_add_f16_e32 v120, v121, v122
	v_add_f16_e32 v116, v116, v118
	;; [unrolled: 1-line block ×3, first 2 shown]
	v_lshrrev_b32_e32 v122, 16, v199
	v_add_f16_e32 v55, v72, v57
	v_add_f16_e32 v118, v119, v120
	;; [unrolled: 1-line block ×4, first 2 shown]
	v_fmac_f16_e32 v156, 0x3bf7, v56
	v_fmac_f16_e32 v142, 0xb5c8, v31
	;; [unrolled: 1-line block ×4, first 2 shown]
	v_mul_f16_sdwa v120, v122, v198 dst_sel:DWORD dst_unused:UNUSED_PAD src0_sel:DWORD src1_sel:WORD_1
	v_add_f16_e32 v116, v117, v118
	v_add_f16_e32 v112, v112, v114
	;; [unrolled: 1-line block ×3, first 2 shown]
	v_mul_f16_sdwa v119, v199, v198 dst_sel:DWORD dst_unused:UNUSED_PAD src0_sel:DWORD src1_sel:WORD_1
	v_fma_f16 v117, v199, v198, -v120
	v_add_f16_e32 v114, v115, v116
	v_add_f16_e32 v110, v110, v112
	v_lshrrev_b32_e32 v145, 16, v193
	v_add_f16_e32 v136, v158, v136
	v_fmac_f16_e32 v119, v122, v198
	v_mul_f16_sdwa v116, v117, v197 dst_sel:DWORD dst_unused:UNUSED_PAD src0_sel:DWORD src1_sel:WORD_1
	v_add_f16_e32 v112, v113, v114
	v_add_f16_e32 v109, v109, v110
	v_fmac_f16_e32 v128, 0x3964, v30
	s_waitcnt vmcnt(5)
	v_lshrrev_b32_e32 v22, 16, v210
	v_mul_f16_sdwa v15, v210, v229 dst_sel:DWORD dst_unused:UNUSED_PAD src0_sel:DWORD src1_sel:WORD_1
	s_waitcnt vmcnt(3)
	v_mul_f16_sdwa v100, v98, v202 dst_sel:DWORD dst_unused:UNUSED_PAD src0_sel:DWORD src1_sel:WORD_1
	v_mul_f16_sdwa v149, v193, v196 dst_sel:DWORD dst_unused:UNUSED_PAD src0_sel:DWORD src1_sel:WORD_1
	;; [unrolled: 1-line block ×4, first 2 shown]
	v_fmac_f16_e32 v15, v22, v229
	v_fma_f16 v94, v202, v93, -v100
	v_mul_f16_sdwa v93, v93, v202 dst_sel:DWORD dst_unused:UNUSED_PAD src0_sel:DWORD src1_sel:WORD_1
	v_add_f16_e32 v136, v157, v136
	v_fma_f16 v16, v210, v229, -v18
	v_add_f16_e32 v18, v9, v11
	v_mov_b32_e32 v11, 0x227
	v_add_f16_e32 v9, v12, v42
	v_mul_f16_sdwa v14, v15, v225 dst_sel:DWORD dst_unused:UNUSED_PAD src0_sel:DWORD src1_sel:WORD_1
	v_mul_f16_sdwa v13, v16, v225 dst_sel:DWORD dst_unused:UNUSED_PAD src0_sel:DWORD src1_sel:WORD_1
	v_fmac_f16_e32 v93, v202, v98
	v_mul_u32_u24_sdwa v0, v0, v11 dst_sel:DWORD dst_unused:UNUSED_PAD src0_sel:WORD_0 src1_sel:DWORD
	v_add_f16_e32 v9, v9, v41
	v_fma_f16 v12, v225, v16, -v14
	v_fmac_f16_e32 v13, v225, v15
	v_mul_f16_e32 v56, v26, v93
	v_lshrrev_b32_e32 v0, 16, v0
	v_add_f16_e32 v9, v9, v40
	v_mul_f16_e32 v31, v55, v93
	v_mul_f16_e32 v16, v18, v13
	;; [unrolled: 1-line block ×3, first 2 shown]
	s_waitcnt vmcnt(2)
	v_lshrrev_b32_e32 v11, 16, v146
	v_mul_lo_u16 v0, 0x121, v0
	s_waitcnt vmcnt(1)
	v_mul_f16_sdwa v14, v146, v150 dst_sel:DWORD dst_unused:UNUSED_PAD src0_sel:DWORD src1_sel:WORD_1
	v_add_f16_e32 v9, v9, v39
	v_fmac_f16_e32 v16, v19, v12
	v_mul_f16_sdwa v10, v11, v150 dst_sel:DWORD dst_unused:UNUSED_PAD src0_sel:DWORD src1_sel:WORD_1
	v_add_nc_u32_sdwa v21, v35, v0 dst_sel:DWORD dst_unused:UNUSED_PAD src0_sel:DWORD src1_sel:WORD_0
	v_fmac_f16_e32 v14, v11, v150
	v_add_f16_e32 v11, v9, v38
	v_mov_b32_e32 v0, v7
	v_fma_f16 v10, v146, v150, -v10
	v_mad_u64_u32 v[8:9], null, s0, v21, 0
	v_add_nc_u32_e32 v19, 34, v21
	v_fma_f16 v18, v18, v12, -v13
	v_add_nc_u32_e32 v25, 51, v21
	v_fmac_f16_e32 v56, v55, v94
	v_mul_f16_sdwa v115, v119, v197 dst_sel:DWORD dst_unused:UNUSED_PAD src0_sel:DWORD src1_sel:WORD_1
	v_mad_u64_u32 v[12:13], null, s0, v19, 0
	v_mov_b32_e32 v5, v9
	v_fmac_f16_e32 v116, v197, v119
	v_add_f16_e32 v110, v111, v112
	v_add_f16_e32 v109, v128, v109
	v_fmac_f16_e32 v149, v145, v196
	v_fma_f16 v145, v193, v196, -v152
	v_add_f16_e32 v136, v156, v136
	v_fma_f16 v113, v197, v117, -v115
	v_mul_f16_e32 v111, v110, v116
	s_waitcnt vmcnt(0)
	v_mul_f16_sdwa v22, v10, v137 dst_sel:DWORD dst_unused:UNUSED_PAD src0_sel:DWORD src1_sel:WORD_1
	v_mul_f16_sdwa v15, v14, v137 dst_sel:DWORD dst_unused:UNUSED_PAD src0_sel:DWORD src1_sel:WORD_1
	v_mul_f16_e32 v104, v109, v116
	v_mul_f16_sdwa v153, v145, v200 dst_sel:DWORD dst_unused:UNUSED_PAD src0_sel:DWORD src1_sel:WORD_1
	v_add_f16_e32 v136, v142, v136
	v_fmac_f16_e32 v22, v137, v14
	v_add_f16_e32 v14, v11, v37
	v_fma_f16 v15, v137, v10, -v15
	v_mad_u64_u32 v[9:10], null, s3, v34, v[0:1]
	v_mul_f16_e32 v23, v20, v22
	v_mul_f16_e32 v7, v14, v22
	v_mad_u64_u32 v[10:11], null, s1, v21, v[5:6]
	s_lshl_b64 s[2:3], s[6:7], 2
	v_fmac_f16_e32 v23, v14, v15
	v_fma_f16 v14, v20, v15, -v7
	v_add_nc_u32_e32 v15, 17, v21
	v_mov_b32_e32 v7, v9
	s_add_u32 s2, s4, s2
	v_mov_b32_e32 v9, v10
	s_addc_u32 s3, s5, s3
	v_mad_u64_u32 v[10:11], null, s0, v15, 0
	v_lshlrev_b64 v[5:6], 2, v[6:7]
	v_lshlrev_b64 v[7:8], 2, v[8:9]
	v_fma_f16 v22, v26, v94, -v31
	v_fmac_f16_e32 v141, 0xba62, v30
	v_fmac_f16_e32 v111, v109, v113
	v_fma_f16 v97, v110, v113, -v104
	v_mov_b32_e32 v0, v11
	v_add_co_u32 v20, vcc_lo, s2, v5
	v_add_co_ci_u32_e32 v24, vcc_lo, s3, v6, vcc_lo
	v_mad_u64_u32 v[5:6], null, s1, v15, v[0:1]
	v_mov_b32_e32 v0, v13
	v_add_co_u32 v6, vcc_lo, v20, v7
	v_add_co_ci_u32_e32 v7, vcc_lo, v24, v8, vcc_lo
	v_pack_b32_f16 v13, v14, v23
	v_mad_u64_u32 v[8:9], null, s1, v19, v[0:1]
	v_mad_u64_u32 v[14:15], null, s0, v25, 0
	v_mov_b32_e32 v11, v5
	v_add_nc_u32_e32 v19, 0x44, v21
	global_store_dword v[6:7], v13, off
	v_mul_f16_sdwa v152, v149, v200 dst_sel:DWORD dst_unused:UNUSED_PAD src0_sel:DWORD src1_sel:WORD_1
	v_mov_b32_e32 v13, v8
	v_lshlrev_b64 v[5:6], 2, v[10:11]
	v_mov_b32_e32 v0, v15
	v_mad_u64_u32 v[7:8], null, s0, v19, 0
	v_lshlrev_b64 v[9:10], 2, v[12:13]
	v_pack_b32_f16 v15, v18, v16
	v_mad_u64_u32 v[11:12], null, s1, v25, v[0:1]
	v_add_co_u32 v5, vcc_lo, v20, v5
	v_add_co_ci_u32_e32 v6, vcc_lo, v24, v6, vcc_lo
	v_add_nc_u32_e32 v13, 0x55, v21
	v_mov_b32_e32 v0, v8
	v_add_nc_u32_e32 v16, 0x66, v21
	global_store_dword v[5:6], v15, off
	v_mov_b32_e32 v15, v11
	v_mad_u64_u32 v[11:12], null, s0, v13, 0
	v_add_co_u32 v5, vcc_lo, v20, v9
	v_add_co_ci_u32_e32 v6, vcc_lo, v24, v10, vcc_lo
	v_mad_u64_u32 v[8:9], null, s1, v19, v[0:1]
	v_pack_b32_f16 v0, v22, v56
	v_lshlrev_b64 v[9:10], 2, v[14:15]
	v_add_nc_u32_e32 v18, 0x77, v21
	v_fmac_f16_e32 v153, v200, v149
	v_add_f16_e32 v138, v139, v138
	global_store_dword v[5:6], v0, off
	v_mov_b32_e32 v0, v12
	v_add_co_u32 v5, vcc_lo, v20, v9
	v_add_co_ci_u32_e32 v6, vcc_lo, v24, v10, vcc_lo
	v_mad_u64_u32 v[9:10], null, s1, v13, v[0:1]
	v_lshlrev_b64 v[7:8], 2, v[7:8]
	v_mad_u64_u32 v[13:14], null, s0, v16, 0
	v_add_f16_e32 v136, v141, v136
	v_pack_b32_f16 v15, v92, v95
	v_pack_b32_f16 v19, v97, v111
	v_mov_b32_e32 v12, v9
	v_mad_u64_u32 v[9:10], null, s0, v18, 0
	v_add_co_u32 v7, vcc_lo, v20, v7
	v_add_co_ci_u32_e32 v8, vcc_lo, v24, v8, vcc_lo
	v_mov_b32_e32 v0, v14
	v_fma_f16 v145, v200, v145, -v152
	v_mul_f16_e32 v139, v138, v153
	v_mul_f16_e32 v124, v136, v153
	global_store_dword v[5:6], v15, off
	v_lshlrev_b64 v[5:6], 2, v[11:12]
	global_store_dword v[7:8], v19, off
	v_mad_u64_u32 v[7:8], null, s1, v16, v[0:1]
	v_mov_b32_e32 v0, v10
	v_fmac_f16_e32 v139, v136, v145
	v_fma_f16 v121, v138, v145, -v124
	v_add_nc_u32_e32 v15, 0x88, v21
	v_add_co_u32 v5, vcc_lo, v20, v5
	v_mad_u64_u32 v[10:11], null, s1, v18, v[0:1]
	v_add_co_ci_u32_e32 v6, vcc_lo, v24, v6, vcc_lo
	v_pack_b32_f16 v8, v121, v139
	v_mad_u64_u32 v[11:12], null, s0, v15, 0
	v_add_nc_u32_e32 v16, 0x99, v21
	v_mov_b32_e32 v14, v7
	global_store_dword v[5:6], v8, off
	v_lshlrev_b64 v[9:10], 2, v[9:10]
	v_add_nc_u32_e32 v18, 0xcc, v21
	v_mad_u64_u32 v[7:8], null, s0, v16, 0
	v_lshlrev_b64 v[5:6], 2, v[13:14]
	v_mov_b32_e32 v0, v12
	v_fma_f16 v127, v206, v203, -v201
	v_add_nc_u32_e32 v19, 0xff, v21
	v_pack_b32_f16 v22, v126, v125
	v_mad_u64_u32 v[12:13], null, s1, v15, v[0:1]
	v_mov_b32_e32 v0, v8
	v_add_co_u32 v5, vcc_lo, v20, v5
	v_add_co_ci_u32_e32 v6, vcc_lo, v24, v6, vcc_lo
	v_add_co_u32 v8, vcc_lo, v20, v9
	v_mad_u64_u32 v[13:14], null, s1, v16, v[0:1]
	v_pack_b32_f16 v15, v135, v151
	v_add_co_ci_u32_e32 v9, vcc_lo, v24, v10, vcc_lo
	v_pack_b32_f16 v10, v36, v17
	v_add_nc_u32_e32 v14, 0xaa, v21
	global_store_dword v[5:6], v15, off
	v_add_nc_u32_e32 v15, 0xbb, v21
	v_lshlrev_b64 v[5:6], 2, v[11:12]
	global_store_dword v[8:9], v10, off
	v_mad_u64_u32 v[9:10], null, s0, v14, 0
	v_mad_u64_u32 v[11:12], null, s0, v15, 0
	v_mov_b32_e32 v8, v13
	v_add_co_u32 v5, vcc_lo, v20, v5
	v_add_co_ci_u32_e32 v6, vcc_lo, v24, v6, vcc_lo
	v_mov_b32_e32 v0, v10
	v_lshlrev_b64 v[7:8], 2, v[7:8]
	v_pack_b32_f16 v16, v134, v133
	v_pack_b32_f16 v17, v132, v131
	v_mad_u64_u32 v[13:14], null, s1, v14, v[0:1]
	v_mov_b32_e32 v0, v12
	v_add_co_u32 v7, vcc_lo, v20, v7
	v_add_co_ci_u32_e32 v8, vcc_lo, v24, v8, vcc_lo
	global_store_dword v[5:6], v16, off
	v_mov_b32_e32 v10, v13
	v_mad_u64_u32 v[12:13], null, s1, v15, v[0:1]
	v_mad_u64_u32 v[13:14], null, s0, v18, 0
	v_lshlrev_b64 v[5:6], 2, v[9:10]
	v_add_nc_u32_e32 v15, 0xdd, v21
	global_store_dword v[7:8], v17, off
	v_lshlrev_b64 v[7:8], 2, v[11:12]
	v_pack_b32_f16 v12, v127, v140
	v_mov_b32_e32 v0, v14
	v_add_co_u32 v5, vcc_lo, v20, v5
	v_add_co_ci_u32_e32 v6, vcc_lo, v24, v6, vcc_lo
	v_mad_u64_u32 v[9:10], null, s1, v18, v[0:1]
	v_mad_u64_u32 v[10:11], null, s0, v15, 0
	v_add_co_u32 v7, vcc_lo, v20, v7
	v_add_co_ci_u32_e32 v8, vcc_lo, v24, v8, vcc_lo
	v_mov_b32_e32 v14, v9
	v_add_nc_u32_e32 v9, 0xee, v21
	v_pack_b32_f16 v0, v130, v129
	global_store_dword v[5:6], v12, off
	global_store_dword v[7:8], v0, off
	v_mov_b32_e32 v0, v11
	v_mad_u64_u32 v[7:8], null, s0, v9, 0
	v_add_nc_u32_e32 v21, 0x110, v21
	v_lshlrev_b64 v[5:6], 2, v[13:14]
	v_mad_u64_u32 v[12:13], null, s0, v19, 0
	v_mad_u64_u32 v[14:15], null, s1, v15, v[0:1]
	;; [unrolled: 1-line block ×3, first 2 shown]
	v_mov_b32_e32 v0, v8
	v_add_co_u32 v5, vcc_lo, v20, v5
	v_mov_b32_e32 v8, v13
	v_add_co_ci_u32_e32 v6, vcc_lo, v24, v6, vcc_lo
	v_mad_u64_u32 v[17:18], null, s1, v9, v[0:1]
	v_mov_b32_e32 v11, v14
	v_mov_b32_e32 v0, v16
	v_mad_u64_u32 v[18:19], null, s1, v19, v[8:9]
	global_store_dword v[5:6], v22, off
	v_lshlrev_b64 v[5:6], 2, v[10:11]
	v_mad_u64_u32 v[9:10], null, s1, v21, v[0:1]
	v_mov_b32_e32 v8, v17
	v_pack_b32_f16 v0, v123, v108
	v_mov_b32_e32 v13, v18
	v_add_co_u32 v5, vcc_lo, v20, v5
	v_lshlrev_b64 v[7:8], 2, v[7:8]
	v_mov_b32_e32 v16, v9
	v_lshlrev_b64 v[10:11], 2, v[12:13]
	v_add_co_ci_u32_e32 v6, vcc_lo, v24, v6, vcc_lo
	v_pack_b32_f16 v14, v91, v4
	v_add_co_u32 v7, vcc_lo, v20, v7
	v_lshlrev_b64 v[12:13], 2, v[15:16]
	v_add_co_ci_u32_e32 v8, vcc_lo, v24, v8, vcc_lo
	v_add_co_u32 v9, vcc_lo, v20, v10
	v_add_co_ci_u32_e32 v10, vcc_lo, v24, v11, vcc_lo
	v_pack_b32_f16 v11, v90, v3
	v_add_co_u32 v3, vcc_lo, v20, v12
	v_add_co_ci_u32_e32 v4, vcc_lo, v24, v13, vcc_lo
	v_pack_b32_f16 v1, v2, v1
	global_store_dword v[5:6], v0, off
	global_store_dword v[7:8], v14, off
	;; [unrolled: 1-line block ×4, first 2 shown]
.LBB0_16:
	s_endpgm
	.section	.rodata,"a",@progbits
	.p2align	6, 0x0
	.amdhsa_kernel fft_rtc_fwd_len289_factors_17_17_wgs_119_tpt_17_half_ip_CI_sbcc_twdbase8_3step_dirReg
		.amdhsa_group_segment_fixed_size 0
		.amdhsa_private_segment_fixed_size 0
		.amdhsa_kernarg_size 96
		.amdhsa_user_sgpr_count 6
		.amdhsa_user_sgpr_private_segment_buffer 1
		.amdhsa_user_sgpr_dispatch_ptr 0
		.amdhsa_user_sgpr_queue_ptr 0
		.amdhsa_user_sgpr_kernarg_segment_ptr 1
		.amdhsa_user_sgpr_dispatch_id 0
		.amdhsa_user_sgpr_flat_scratch_init 0
		.amdhsa_user_sgpr_private_segment_size 0
		.amdhsa_wavefront_size32 1
		.amdhsa_uses_dynamic_stack 0
		.amdhsa_system_sgpr_private_segment_wavefront_offset 0
		.amdhsa_system_sgpr_workgroup_id_x 1
		.amdhsa_system_sgpr_workgroup_id_y 0
		.amdhsa_system_sgpr_workgroup_id_z 0
		.amdhsa_system_sgpr_workgroup_info 0
		.amdhsa_system_vgpr_workitem_id 0
		.amdhsa_next_free_vgpr 231
		.amdhsa_next_free_sgpr 46
		.amdhsa_reserve_vcc 1
		.amdhsa_reserve_flat_scratch 0
		.amdhsa_float_round_mode_32 0
		.amdhsa_float_round_mode_16_64 0
		.amdhsa_float_denorm_mode_32 3
		.amdhsa_float_denorm_mode_16_64 3
		.amdhsa_dx10_clamp 1
		.amdhsa_ieee_mode 1
		.amdhsa_fp16_overflow 0
		.amdhsa_workgroup_processor_mode 1
		.amdhsa_memory_ordered 1
		.amdhsa_forward_progress 0
		.amdhsa_shared_vgpr_count 0
		.amdhsa_exception_fp_ieee_invalid_op 0
		.amdhsa_exception_fp_denorm_src 0
		.amdhsa_exception_fp_ieee_div_zero 0
		.amdhsa_exception_fp_ieee_overflow 0
		.amdhsa_exception_fp_ieee_underflow 0
		.amdhsa_exception_fp_ieee_inexact 0
		.amdhsa_exception_int_div_zero 0
	.end_amdhsa_kernel
	.text
.Lfunc_end0:
	.size	fft_rtc_fwd_len289_factors_17_17_wgs_119_tpt_17_half_ip_CI_sbcc_twdbase8_3step_dirReg, .Lfunc_end0-fft_rtc_fwd_len289_factors_17_17_wgs_119_tpt_17_half_ip_CI_sbcc_twdbase8_3step_dirReg
                                        ; -- End function
	.section	.AMDGPU.csdata,"",@progbits
; Kernel info:
; codeLenInByte = 17080
; NumSgprs: 48
; NumVgprs: 231
; ScratchSize: 0
; MemoryBound: 0
; FloatMode: 240
; IeeeMode: 1
; LDSByteSize: 0 bytes/workgroup (compile time only)
; SGPRBlocks: 5
; VGPRBlocks: 28
; NumSGPRsForWavesPerEU: 48
; NumVGPRsForWavesPerEU: 231
; Occupancy: 4
; WaveLimiterHint : 1
; COMPUTE_PGM_RSRC2:SCRATCH_EN: 0
; COMPUTE_PGM_RSRC2:USER_SGPR: 6
; COMPUTE_PGM_RSRC2:TRAP_HANDLER: 0
; COMPUTE_PGM_RSRC2:TGID_X_EN: 1
; COMPUTE_PGM_RSRC2:TGID_Y_EN: 0
; COMPUTE_PGM_RSRC2:TGID_Z_EN: 0
; COMPUTE_PGM_RSRC2:TIDIG_COMP_CNT: 0
	.text
	.p2alignl 6, 3214868480
	.fill 48, 4, 3214868480
	.type	__hip_cuid_1b691752b76176e7,@object ; @__hip_cuid_1b691752b76176e7
	.section	.bss,"aw",@nobits
	.globl	__hip_cuid_1b691752b76176e7
__hip_cuid_1b691752b76176e7:
	.byte	0                               ; 0x0
	.size	__hip_cuid_1b691752b76176e7, 1

	.ident	"AMD clang version 19.0.0git (https://github.com/RadeonOpenCompute/llvm-project roc-6.4.0 25133 c7fe45cf4b819c5991fe208aaa96edf142730f1d)"
	.section	".note.GNU-stack","",@progbits
	.addrsig
	.addrsig_sym __hip_cuid_1b691752b76176e7
	.amdgpu_metadata
---
amdhsa.kernels:
  - .args:
      - .actual_access:  read_only
        .address_space:  global
        .offset:         0
        .size:           8
        .value_kind:     global_buffer
      - .address_space:  global
        .offset:         8
        .size:           8
        .value_kind:     global_buffer
      - .offset:         16
        .size:           8
        .value_kind:     by_value
      - .actual_access:  read_only
        .address_space:  global
        .offset:         24
        .size:           8
        .value_kind:     global_buffer
      - .actual_access:  read_only
        .address_space:  global
        .offset:         32
        .size:           8
        .value_kind:     global_buffer
      - .offset:         40
        .size:           8
        .value_kind:     by_value
      - .actual_access:  read_only
        .address_space:  global
        .offset:         48
        .size:           8
        .value_kind:     global_buffer
      - .actual_access:  read_only
        .address_space:  global
        .offset:         56
        .size:           8
        .value_kind:     global_buffer
      - .offset:         64
        .size:           4
        .value_kind:     by_value
      - .actual_access:  read_only
        .address_space:  global
        .offset:         72
        .size:           8
        .value_kind:     global_buffer
      - .actual_access:  read_only
        .address_space:  global
        .offset:         80
        .size:           8
        .value_kind:     global_buffer
      - .address_space:  global
        .offset:         88
        .size:           8
        .value_kind:     global_buffer
    .group_segment_fixed_size: 0
    .kernarg_segment_align: 8
    .kernarg_segment_size: 96
    .language:       OpenCL C
    .language_version:
      - 2
      - 0
    .max_flat_workgroup_size: 119
    .name:           fft_rtc_fwd_len289_factors_17_17_wgs_119_tpt_17_half_ip_CI_sbcc_twdbase8_3step_dirReg
    .private_segment_fixed_size: 0
    .sgpr_count:     48
    .sgpr_spill_count: 0
    .symbol:         fft_rtc_fwd_len289_factors_17_17_wgs_119_tpt_17_half_ip_CI_sbcc_twdbase8_3step_dirReg.kd
    .uniform_work_group_size: 1
    .uses_dynamic_stack: false
    .vgpr_count:     231
    .vgpr_spill_count: 0
    .wavefront_size: 32
    .workgroup_processor_mode: 1
amdhsa.target:   amdgcn-amd-amdhsa--gfx1030
amdhsa.version:
  - 1
  - 2
...

	.end_amdgpu_metadata
